;; amdgpu-corpus repo=ROCm/rocFFT kind=compiled arch=gfx1030 opt=O3
	.text
	.amdgcn_target "amdgcn-amd-amdhsa--gfx1030"
	.amdhsa_code_object_version 6
	.protected	bluestein_single_back_len1728_dim1_dp_op_CI_CI ; -- Begin function bluestein_single_back_len1728_dim1_dp_op_CI_CI
	.globl	bluestein_single_back_len1728_dim1_dp_op_CI_CI
	.p2align	8
	.type	bluestein_single_back_len1728_dim1_dp_op_CI_CI,@function
bluestein_single_back_len1728_dim1_dp_op_CI_CI: ; @bluestein_single_back_len1728_dim1_dp_op_CI_CI
; %bb.0:
	s_load_dwordx4 s[8:11], s[4:5], 0x28
	v_mul_u32_u24_e32 v1, 0x25f, v0
	s_mov_b64 s[26:27], s[2:3]
	s_mov_b64 s[24:25], s[0:1]
	v_mov_b32_e32 v12, 0
	s_add_u32 s24, s24, s7
	v_lshrrev_b32_e32 v1, 16, v1
	s_addc_u32 s25, s25, 0
	s_mov_b32 s0, exec_lo
	v_add_nc_u32_e32 v11, s6, v1
	s_waitcnt lgkmcnt(0)
	v_cmpx_gt_u64_e64 s[8:9], v[11:12]
	s_cbranch_execz .LBB0_31
; %bb.1:
	s_clause 0x1
	s_load_dwordx4 s[0:3], s[4:5], 0x18
	s_load_dwordx2 s[16:17], s[4:5], 0x0
	v_mul_lo_u16 v1, 0x6c, v1
	v_mov_b32_e32 v12, v11
	v_sub_nc_u16 v2, v0, v1
	v_and_b32_e32 v204, 0xffff, v2
	v_lshlrev_b32_e32 v100, 4, v204
	v_or_b32_e32 v15, 0x480, v204
	s_waitcnt lgkmcnt(0)
	s_load_dwordx4 s[12:15], s[0:1], 0x0
	s_clause 0x1
	global_load_dwordx4 v[79:82], v100, s[16:17]
	global_load_dwordx4 v[83:86], v100, s[16:17] offset:1728
	v_add_co_u32 v61, s0, s16, v100
	v_lshlrev_b32_e32 v0, 4, v15
	v_add_co_ci_u32_e64 v62, null, s17, 0, s0
	v_add_co_u32 v13, vcc_lo, 0x2000, v61
	buffer_store_dword v0, off, s[24:27], 0 offset:272 ; 4-byte Folded Spill
	global_load_dwordx4 v[87:90], v0, s[16:17]
	buffer_store_dword v12, off, s[24:27], 0 offset:68 ; 4-byte Folded Spill
	buffer_store_dword v13, off, s[24:27], 0 offset:72 ; 4-byte Folded Spill
	v_add_co_ci_u32_e32 v14, vcc_lo, 0, v62, vcc_lo
	v_add_co_u32 v3, vcc_lo, 0x2800, v61
	v_add_co_ci_u32_e32 v4, vcc_lo, 0, v62, vcc_lo
	s_waitcnt lgkmcnt(0)
	v_mad_u64_u32 v[0:1], null, s14, v11, 0
	v_mad_u64_u32 v[5:6], null, s12, v204, 0
	v_add_co_u32 v7, vcc_lo, 0x4800, v61
	v_add_co_ci_u32_e32 v8, vcc_lo, 0, v62, vcc_lo
	v_mad_u64_u32 v[11:12], null, s15, v11, v[1:2]
	v_add_co_u32 v9, vcc_lo, 0x800, v61
	v_add_co_ci_u32_e32 v10, vcc_lo, 0, v62, vcc_lo
	v_add_co_u32 v35, vcc_lo, 0x3000, v61
	v_mov_b32_e32 v1, v11
	v_add_co_ci_u32_e32 v36, vcc_lo, 0, v62, vcc_lo
	s_mul_i32 s1, s13, 0x240
	s_mul_hi_u32 s6, s12, 0x240
	v_lshlrev_b64 v[0:1], 4, v[0:1]
	s_mul_i32 s0, s12, 0x240
	s_add_i32 s1, s6, s1
	s_mul_i32 s6, s13, 0xffffe2c0
	s_lshl_b64 s[14:15], s[0:1], 4
	s_sub_i32 s6, s6, s12
	s_mul_hi_u32 s7, s12, 0xfffffbec
	s_mul_i32 s1, s13, 0xfffffbec
	s_sub_i32 s7, s7, s12
	s_mul_i32 s0, s12, 0xfffffbec
	s_add_i32 s1, s7, s1
	buffer_store_dword v13, off, s[24:27], 0 offset:8 ; 4-byte Folded Spill
	buffer_store_dword v14, off, s[24:27], 0 offset:12 ; 4-byte Folded Spill
	s_lshl_b64 s[0:1], s[0:1], 4
	global_load_dwordx4 v[91:94], v[13:14], off offset:1024
	v_mad_u64_u32 v[12:13], null, s13, v204, v[6:7]
	s_clause 0x2
	global_load_dwordx4 v[123:126], v[3:4], off offset:704
	global_load_dwordx4 v[115:118], v[7:8], off offset:1728
	;; [unrolled: 1-line block ×3, first 2 shown]
	v_add_co_u32 v7, vcc_lo, s10, v0
	v_add_co_ci_u32_e32 v8, vcc_lo, s11, v1, vcc_lo
	v_mad_u64_u32 v[3:4], null, s12, v15, 0
	v_mov_b32_e32 v6, v12
	buffer_store_dword v15, off, s[24:27], 0 offset:172 ; 4-byte Folded Spill
	v_lshlrev_b64 v[5:6], 4, v[5:6]
	v_add_co_u32 v0, vcc_lo, v7, v5
	v_add_co_ci_u32_e32 v1, vcc_lo, v8, v6, vcc_lo
	v_mad_u64_u32 v[4:5], null, s13, v15, v[4:5]
	v_add_co_u32 v11, vcc_lo, v0, s14
	v_add_co_ci_u32_e32 v12, vcc_lo, s15, v1, vcc_lo
	v_lshlrev_b64 v[3:4], 4, v[3:4]
	v_mad_u64_u32 v[15:16], null, 0xffffe2c0, s12, v[11:12]
	v_add_nc_u32_e32 v16, s6, v16
	v_add_co_u32 v19, vcc_lo, v15, s14
	v_add_co_ci_u32_e32 v20, vcc_lo, s15, v16, vcc_lo
	v_add_co_u32 v3, vcc_lo, v7, v3
	v_add_co_ci_u32_e32 v4, vcc_lo, v8, v4, vcc_lo
	;; [unrolled: 2-line block ×3, first 2 shown]
	global_load_dwordx4 v[3:6], v[3:4], off
	v_add_co_u32 v27, vcc_lo, v23, s0
	v_add_co_ci_u32_e32 v28, vcc_lo, s1, v24, vcc_lo
	s_clause 0x1
	global_load_dwordx4 v[7:10], v[0:1], off
	global_load_dwordx4 v[11:14], v[11:12], off
	v_add_co_u32 v0, vcc_lo, v27, s14
	v_add_co_ci_u32_e32 v1, vcc_lo, s15, v28, vcc_lo
	s_clause 0x2
	global_load_dwordx4 v[15:18], v[15:16], off
	global_load_dwordx4 v[19:22], v[19:20], off
	;; [unrolled: 1-line block ×5, first 2 shown]
	v_add_co_u32 v0, vcc_lo, v0, s14
	v_add_co_ci_u32_e32 v1, vcc_lo, s15, v1, vcc_lo
	v_add_co_u32 v39, vcc_lo, 0x5000, v61
	v_add_co_ci_u32_e32 v40, vcc_lo, 0, v62, vcc_lo
	;; [unrolled: 2-line block ×4, first 2 shown]
	global_load_dwordx4 v[131:134], v[35:36], off offset:384
	global_load_dwordx4 v[35:38], v[0:1], off
	global_load_dwordx4 v[127:130], v[39:40], off offset:1408
	global_load_dwordx4 v[39:42], v[43:44], off
	global_load_dwordx4 v[119:122], v[45:46], off offset:1088
	v_add_co_u32 v0, vcc_lo, v43, s14
	v_add_co_ci_u32_e32 v1, vcc_lo, s15, v44, vcc_lo
	v_add_co_u32 v59, vcc_lo, 0x3800, v61
	v_add_co_ci_u32_e32 v60, vcc_lo, 0, v62, vcc_lo
	;; [unrolled: 2-line block ×6, first 2 shown]
	global_load_dwordx4 v[43:46], v[0:1], off
	global_load_dwordx4 v[139:142], v[59:60], off offset:64
	global_load_dwordx4 v[47:50], v[47:48], off
	global_load_dwordx4 v[135:138], v[51:52], off offset:1088
	global_load_dwordx4 v[51:54], v[55:56], off
	v_add_co_u32 v55, vcc_lo, v55, s14
	v_add_co_ci_u32_e32 v56, vcc_lo, s15, v56, vcc_lo
	buffer_store_dword v61, off, s[24:27], 0 ; 4-byte Folded Spill
	v_add_co_u32 v61, vcc_lo, 0x6000, v61
	buffer_store_dword v62, off, s[24:27], 0 offset:4 ; 4-byte Folded Spill
	v_add_co_ci_u32_e32 v62, vcc_lo, 0, v62, vcc_lo
	v_add_co_u32 v0, vcc_lo, v55, s14
	v_add_co_ci_u32_e32 v1, vcc_lo, s15, v56, vcc_lo
	global_load_dwordx4 v[143:146], v[57:58], off offset:768
	global_load_dwordx4 v[55:58], v[55:56], off
	s_clause 0x1
	global_load_dwordx4 v[147:150], v[59:60], off offset:1792
	global_load_dwordx4 v[151:154], v[61:62], off offset:768
	global_load_dwordx4 v[59:62], v[0:1], off
	v_cmp_gt_u16_e32 vcc_lo, 36, v2
	s_waitcnt vmcnt(22)
	v_mul_f64 v[67:68], v[5:6], v[89:90]
	v_mul_f64 v[69:70], v[3:4], v[89:90]
	s_waitcnt vmcnt(21)
	v_mul_f64 v[63:64], v[9:10], v[81:82]
	s_waitcnt vmcnt(20)
	;; [unrolled: 2-line block ×3, first 2 shown]
	v_mul_f64 v[75:76], v[17:18], v[85:86]
	v_mul_f64 v[65:66], v[7:8], v[81:82]
	;; [unrolled: 1-line block ×4, first 2 shown]
	v_fma_f64 v[3:4], v[3:4], v[87:88], v[67:68]
	s_waitcnt vmcnt(17)
	v_mul_f64 v[67:68], v[25:26], v[117:118]
	v_fma_f64 v[7:8], v[7:8], v[79:80], v[63:64]
	buffer_store_dword v79, off, s[24:27], 0 offset:16 ; 4-byte Folded Spill
	buffer_store_dword v80, off, s[24:27], 0 offset:20 ; 4-byte Folded Spill
	;; [unrolled: 1-line block ×8, first 2 shown]
	v_fma_f64 v[11:12], v[11:12], v[91:92], v[71:72]
	buffer_store_dword v91, off, s[24:27], 0 offset:140 ; 4-byte Folded Spill
	buffer_store_dword v92, off, s[24:27], 0 offset:144 ; 4-byte Folded Spill
	;; [unrolled: 1-line block ×4, first 2 shown]
	v_fma_f64 v[15:16], v[15:16], v[83:84], v[75:76]
	buffer_store_dword v83, off, s[24:27], 0 offset:32 ; 4-byte Folded Spill
	buffer_store_dword v84, off, s[24:27], 0 offset:36 ; 4-byte Folded Spill
	;; [unrolled: 1-line block ×4, first 2 shown]
	v_mul_f64 v[63:64], v[21:22], v[125:126]
	s_waitcnt vmcnt(16)
	v_mul_f64 v[71:72], v[29:30], v[113:114]
	s_waitcnt vmcnt(12)
	v_mul_f64 v[75:76], v[37:38], v[129:130]
	v_mul_f64 v[81:82], v[31:32], v[133:134]
	s_waitcnt vmcnt(10)
	v_mul_f64 v[85:86], v[39:40], v[121:122]
	s_waitcnt vmcnt(8)
	;; [unrolled: 2-line block ×4, first 2 shown]
	v_mul_f64 v[95:96], v[53:54], v[145:146]
	v_mul_f64 v[97:98], v[51:52], v[145:146]
	s_waitcnt vmcnt(2)
	v_mul_f64 v[103:104], v[57:58], v[149:150]
	v_mul_f64 v[105:106], v[55:56], v[149:150]
	s_waitcnt vmcnt(0)
	v_mul_f64 v[107:108], v[61:62], v[153:154]
	v_mul_f64 v[109:110], v[59:60], v[153:154]
	v_fma_f64 v[51:52], v[51:52], v[143:144], v[95:96]
	v_fma_f64 v[55:56], v[55:56], v[147:148], v[103:104]
	;; [unrolled: 1-line block ×3, first 2 shown]
	v_fma_f64 v[9:10], v[9:10], v[79:80], -v[65:66]
	v_fma_f64 v[5:6], v[5:6], v[87:88], -v[69:70]
	v_mul_f64 v[79:80], v[33:34], v[133:134]
	v_fma_f64 v[13:14], v[13:14], v[91:92], -v[73:74]
	v_mul_f64 v[87:88], v[45:46], v[141:142]
	;; [unrolled: 2-line block ×3, first 2 shown]
	v_mul_f64 v[91:92], v[49:50], v[137:138]
	v_mul_f64 v[65:66], v[19:20], v[125:126]
	;; [unrolled: 1-line block ×5, first 2 shown]
	v_fma_f64 v[19:20], v[19:20], v[123:124], v[63:64]
	buffer_store_dword v123, off, s[24:27], 0 offset:124 ; 4-byte Folded Spill
	buffer_store_dword v124, off, s[24:27], 0 offset:128 ; 4-byte Folded Spill
	buffer_store_dword v125, off, s[24:27], 0 offset:132 ; 4-byte Folded Spill
	buffer_store_dword v126, off, s[24:27], 0 offset:136 ; 4-byte Folded Spill
	v_fma_f64 v[23:24], v[23:24], v[115:116], v[67:68]
	buffer_store_dword v115, off, s[24:27], 0 offset:92 ; 4-byte Folded Spill
	buffer_store_dword v116, off, s[24:27], 0 offset:96 ; 4-byte Folded Spill
	buffer_store_dword v117, off, s[24:27], 0 offset:100 ; 4-byte Folded Spill
	buffer_store_dword v118, off, s[24:27], 0 offset:104 ; 4-byte Folded Spill
	;; [unrolled: 5-line block ×3, first 2 shown]
	v_fma_f64 v[35:36], v[35:36], v[127:128], v[75:76]
	v_fma_f64 v[31:32], v[31:32], v[131:132], v[79:80]
	buffer_store_dword v131, off, s[24:27], 0 offset:176 ; 4-byte Folded Spill
	buffer_store_dword v132, off, s[24:27], 0 offset:180 ; 4-byte Folded Spill
	;; [unrolled: 1-line block ×8, first 2 shown]
	v_fma_f64 v[43:44], v[43:44], v[139:140], v[87:88]
	v_fma_f64 v[39:40], v[39:40], v[119:120], v[83:84]
	buffer_store_dword v119, off, s[24:27], 0 offset:108 ; 4-byte Folded Spill
	buffer_store_dword v120, off, s[24:27], 0 offset:112 ; 4-byte Folded Spill
	;; [unrolled: 1-line block ×8, first 2 shown]
	v_fma_f64 v[47:48], v[47:48], v[135:136], v[91:92]
	buffer_store_dword v135, off, s[24:27], 0 offset:192 ; 4-byte Folded Spill
	buffer_store_dword v136, off, s[24:27], 0 offset:196 ; 4-byte Folded Spill
	;; [unrolled: 1-line block ×16, first 2 shown]
	s_load_dwordx2 s[6:7], s[4:5], 0x38
	s_load_dwordx4 s[8:11], s[2:3], 0x0
	v_fma_f64 v[21:22], v[21:22], v[123:124], -v[65:66]
	v_fma_f64 v[25:26], v[25:26], v[115:116], -v[69:70]
	v_fma_f64 v[29:30], v[29:30], v[111:112], -v[73:74]
	v_fma_f64 v[33:34], v[33:34], v[131:132], -v[81:82]
	v_fma_f64 v[37:38], v[37:38], v[127:128], -v[77:78]
	v_fma_f64 v[41:42], v[41:42], v[119:120], -v[85:86]
	v_fma_f64 v[45:46], v[45:46], v[139:140], -v[89:90]
	ds_write_b128 v100, v[7:10]
	ds_write_b128 v100, v[11:14] offset:9216
	ds_write_b128 v100, v[3:6] offset:18432
	;; [unrolled: 1-line block ×10, first 2 shown]
	v_fma_f64 v[49:50], v[49:50], v[135:136], -v[93:94]
	v_fma_f64 v[53:54], v[53:54], v[143:144], -v[97:98]
	;; [unrolled: 1-line block ×4, first 2 shown]
	ds_write_b128 v100, v[47:50] offset:23616
	ds_write_b128 v100, v[51:54] offset:6912
	;; [unrolled: 1-line block ×4, first 2 shown]
	s_and_saveexec_b32 s2, vcc_lo
	s_cbranch_execz .LBB0_3
; %bb.2:
	v_add_co_u32 v4, s0, v0, s0
	v_add_co_ci_u32_e64 v5, s0, s1, v1, s0
	v_add_co_u32 v8, s0, v4, s14
	global_load_dwordx4 v[0:3], v[4:5], off
	buffer_load_dword v4, off, s[24:27], 0  ; 4-byte Folded Reload
	v_add_co_ci_u32_e64 v9, s0, s15, v5, s0
	buffer_load_dword v5, off, s[24:27], 0 offset:4 ; 4-byte Folded Reload
	s_waitcnt vmcnt(1)
	v_add_co_u32 v12, s0, 0x4000, v4
	s_waitcnt vmcnt(0)
	v_add_co_ci_u32_e64 v13, s0, 0, v5, s0
	v_add_co_u32 v16, s0, 0x6800, v4
	v_add_co_ci_u32_e64 v17, s0, 0, v5, s0
	s_clause 0x1
	buffer_load_dword v4, off, s[24:27], 0 offset:8
	buffer_load_dword v5, off, s[24:27], 0 offset:12
	v_add_co_u32 v20, s0, v8, s14
	v_add_co_ci_u32_e64 v21, s0, s15, v9, s0
	s_waitcnt vmcnt(0)
	global_load_dwordx4 v[4:7], v[4:5], off offset:448
	global_load_dwordx4 v[8:11], v[8:9], off
	s_clause 0x1
	global_load_dwordx4 v[12:15], v[12:13], off offset:1472
	global_load_dwordx4 v[16:19], v[16:17], off offset:448
	global_load_dwordx4 v[20:23], v[20:21], off
	s_waitcnt vmcnt(4)
	v_mul_f64 v[24:25], v[2:3], v[6:7]
	v_mul_f64 v[6:7], v[0:1], v[6:7]
	s_waitcnt vmcnt(2)
	v_mul_f64 v[26:27], v[10:11], v[14:15]
	v_mul_f64 v[14:15], v[8:9], v[14:15]
	;; [unrolled: 3-line block ×3, first 2 shown]
	v_fma_f64 v[0:1], v[0:1], v[4:5], v[24:25]
	v_fma_f64 v[2:3], v[2:3], v[4:5], -v[6:7]
	v_fma_f64 v[4:5], v[8:9], v[12:13], v[26:27]
	v_fma_f64 v[6:7], v[10:11], v[12:13], -v[14:15]
	;; [unrolled: 2-line block ×3, first 2 shown]
	ds_write_b128 v100, v[0:3] offset:8640
	ds_write_b128 v100, v[4:7] offset:17856
	;; [unrolled: 1-line block ×3, first 2 shown]
.LBB0_3:
	s_or_b32 exec_lo, exec_lo, s2
	s_waitcnt lgkmcnt(0)
	s_waitcnt_vscnt null, 0x0
	s_barrier
	buffer_gl0_inv
	ds_read_b128 v[28:31], v100
	ds_read_b128 v[24:27], v100 offset:1728
	ds_read_b128 v[20:23], v100 offset:18432
	;; [unrolled: 1-line block ×14, first 2 shown]
                                        ; implicit-def: $vgpr60_vgpr61
                                        ; implicit-def: $vgpr88_vgpr89
                                        ; implicit-def: $vgpr12_vgpr13
	s_and_saveexec_b32 s0, vcc_lo
	s_cbranch_execz .LBB0_5
; %bb.4:
	ds_read_b128 v[60:63], v100 offset:8640
	ds_read_b128 v[88:91], v100 offset:17856
	;; [unrolled: 1-line block ×3, first 2 shown]
.LBB0_5:
	s_or_b32 exec_lo, exec_lo, s0
	s_waitcnt lgkmcnt(4)
	v_add_f64 v[40:41], v[36:37], v[20:21]
	v_add_f64 v[42:43], v[38:39], v[22:23]
	;; [unrolled: 1-line block ×4, first 2 shown]
	v_add_co_u32 v50, s0, 0x6c, v204
	v_add_co_ci_u32_e64 v48, null, 0, 0, s0
	v_add_f64 v[48:49], v[28:29], v[36:37]
	v_add_f64 v[51:52], v[38:39], -v[22:23]
	v_add_f64 v[38:39], v[30:31], v[38:39]
	v_add_f64 v[36:37], v[36:37], -v[20:21]
	s_mov_b32 s0, 0xe8584caa
	s_load_dwordx2 s[2:3], s[4:5], 0x8
	s_mov_b32 s1, 0x3febb67a
	s_mov_b32 s5, 0xbfebb67a
	;; [unrolled: 1-line block ×3, first 2 shown]
	v_add_f64 v[53:54], v[24:25], v[32:33]
	v_add_f64 v[57:58], v[76:77], v[8:9]
	v_add_f64 v[92:93], v[80:81], v[76:77]
	v_add_f64 v[94:95], v[78:79], v[10:11]
	s_waitcnt lgkmcnt(0)
	v_add_f64 v[96:97], v[84:85], v[4:5]
	v_fma_f64 v[28:29], v[40:41], -0.5, v[28:29]
	v_add_f64 v[40:41], v[34:35], -v[18:19]
	v_fma_f64 v[30:31], v[42:43], -0.5, v[30:31]
	v_fma_f64 v[42:43], v[44:45], -0.5, v[24:25]
	v_add_f64 v[34:35], v[26:27], v[34:35]
	v_add_f64 v[44:45], v[32:33], -v[16:17]
	v_fma_f64 v[46:47], v[46:47], -0.5, v[26:27]
	v_add_f64 v[98:99], v[86:87], v[6:7]
	v_add_f64 v[103:104], v[72:73], v[0:1]
	;; [unrolled: 1-line block ×5, first 2 shown]
	v_add_f64 v[76:77], v[76:77], -v[8:9]
	v_add_co_u32 v56, null, 0xd8, v204
	v_add_nc_u32_e32 v55, 0x144, v204
	v_add_nc_u32_e32 v101, 0x1b0, v204
	v_add_f64 v[16:17], v[53:54], v[16:17]
	v_add_f64 v[53:54], v[78:79], -v[10:11]
	v_add_co_u32 v102, null, 0x21c, v204
	v_fma_f64 v[24:25], v[51:52], s[0:1], v[28:29]
	v_fma_f64 v[28:29], v[51:52], s[4:5], v[28:29]
	;; [unrolled: 1-line block ×6, first 2 shown]
	v_add_f64 v[42:43], v[74:75], v[2:3]
	v_add_f64 v[18:19], v[34:35], v[18:19]
	v_fma_f64 v[34:35], v[44:45], s[4:5], v[46:47]
	v_fma_f64 v[38:39], v[44:45], s[0:1], v[46:47]
	v_add_f64 v[46:47], v[90:91], v[14:15]
	v_fma_f64 v[51:52], v[57:58], -0.5, v[80:81]
	v_add_f64 v[40:41], v[92:93], v[8:9]
	v_add_f64 v[57:58], v[82:83], v[78:79]
	v_fma_f64 v[78:79], v[94:95], -0.5, v[82:83]
	v_add_f64 v[80:81], v[68:69], v[84:85]
	v_fma_f64 v[68:69], v[96:97], -0.5, v[68:69]
	v_add_f64 v[82:83], v[86:87], -v[6:7]
	v_add_f64 v[86:87], v[70:71], v[86:87]
	v_fma_f64 v[70:71], v[98:99], -0.5, v[70:71]
	v_add_f64 v[84:85], v[84:85], -v[4:5]
	v_add_f64 v[92:93], v[64:65], v[72:73]
	v_fma_f64 v[64:65], v[103:104], -0.5, v[64:65]
	v_add_f64 v[94:95], v[74:75], -v[2:3]
	v_add_f64 v[74:75], v[66:67], v[74:75]
	v_add_f64 v[72:73], v[72:73], -v[0:1]
	v_add_f64 v[96:97], v[60:61], v[88:89]
	v_fma_f64 v[48:49], v[48:49], -0.5, v[60:61]
	v_fma_f64 v[66:67], v[42:43], -0.5, v[66:67]
	v_add_f64 v[98:99], v[90:91], -v[14:15]
	v_add_f64 v[90:91], v[62:63], v[90:91]
	v_add_f64 v[88:89], v[88:89], -v[12:13]
	v_fma_f64 v[61:62], v[46:47], -0.5, v[62:63]
	v_fma_f64 v[44:45], v[53:54], s[4:5], v[51:52]
	v_fma_f64 v[8:9], v[53:54], s[0:1], v[51:52]
	v_add_f64 v[42:43], v[57:58], v[10:11]
	v_fma_f64 v[46:47], v[76:77], s[0:1], v[78:79]
	v_add_f64 v[4:5], v[80:81], v[4:5]
	v_fma_f64 v[10:11], v[76:77], s[4:5], v[78:79]
	v_fma_f64 v[57:58], v[82:83], s[4:5], v[68:69]
	v_add_f64 v[6:7], v[86:87], v[6:7]
	v_fma_f64 v[51:52], v[82:83], s[0:1], v[68:69]
	v_fma_f64 v[59:60], v[84:85], s[0:1], v[70:71]
	v_add_f64 v[120:121], v[92:93], v[0:1]
	v_fma_f64 v[53:54], v[84:85], s[4:5], v[70:71]
	v_fma_f64 v[108:109], v[94:95], s[0:1], v[64:65]
	v_fma_f64 v[112:113], v[94:95], s[4:5], v[64:65]
	v_add_f64 v[122:123], v[74:75], v[2:3]
	v_add_f64 v[116:117], v[96:97], v[12:13]
	v_mul_lo_u16 v0, v204, 3
	v_fma_f64 v[110:111], v[72:73], s[4:5], v[66:67]
	v_fma_f64 v[114:115], v[72:73], s[0:1], v[66:67]
	v_fma_f64 v[128:129], v[98:99], s[0:1], v[48:49]
	v_fma_f64 v[124:125], v[98:99], s[4:5], v[48:49]
	v_add_f64 v[118:119], v[90:91], v[14:15]
	v_fma_f64 v[130:131], v[88:89], s[4:5], v[61:62]
	v_fma_f64 v[126:127], v[88:89], s[0:1], v[61:62]
	v_mov_b32_e32 v1, 4
	v_mul_u32_u24_e32 v2, 3, v50
	s_barrier
	buffer_gl0_inv
	v_lshlrev_b32_sdwa v1, v1, v0 dst_sel:DWORD dst_unused:UNUSED_PAD src0_sel:DWORD src1_sel:WORD_0
	v_mul_u32_u24_e32 v0, 3, v56
	v_lshlrev_b32_e32 v2, 4, v2
	ds_write_b128 v1, v[20:23]
	ds_write_b128 v1, v[24:27] offset:16
	buffer_store_dword v1, off, s[24:27], 0 offset:312 ; 4-byte Folded Spill
	ds_write_b128 v1, v[28:31] offset:32
	ds_write_b128 v2, v[16:19]
	v_mul_u32_u24_e32 v1, 3, v55
	v_lshlrev_b32_e32 v3, 4, v0
	v_mul_u32_u24_e32 v0, 3, v101
	ds_write_b128 v2, v[32:35] offset:16
	buffer_store_dword v2, off, s[24:27], 0 offset:308 ; 4-byte Folded Spill
	ds_write_b128 v2, v[36:39] offset:32
	v_lshlrev_b32_e32 v1, 4, v1
	v_lshlrev_b32_e32 v0, 4, v0
	v_mul_u32_u24_e32 v2, 3, v102
	ds_write_b128 v3, v[40:43]
	ds_write_b128 v3, v[8:11] offset:16
	buffer_store_dword v3, off, s[24:27], 0 offset:336 ; 4-byte Folded Spill
	ds_write_b128 v3, v[44:47] offset:32
	ds_write_b128 v1, v[4:7]
	ds_write_b128 v1, v[51:54] offset:16
	buffer_store_dword v2, off, s[24:27], 0 offset:360 ; 4-byte Folded Spill
	buffer_store_dword v1, off, s[24:27], 0 offset:356 ; 4-byte Folded Spill
	ds_write_b128 v1, v[57:60] offset:32
	ds_write_b128 v0, v[120:123]
	ds_write_b128 v0, v[108:111] offset:16
	buffer_store_dword v0, off, s[24:27], 0 offset:316 ; 4-byte Folded Spill
	ds_write_b128 v0, v[112:115] offset:32
	s_and_saveexec_b32 s0, vcc_lo
	s_cbranch_execz .LBB0_7
; %bb.6:
	buffer_load_dword v0, off, s[24:27], 0 offset:360 ; 4-byte Folded Reload
	s_waitcnt vmcnt(0)
	v_lshlrev_b32_e32 v0, 4, v0
	ds_write_b128 v0, v[116:119]
	ds_write_b128 v0, v[128:131] offset:16
	ds_write_b128 v0, v[124:127] offset:32
.LBB0_7:
	s_or_b32 exec_lo, exec_lo, s0
	s_waitcnt lgkmcnt(0)
	s_waitcnt_vscnt null, 0x0
	s_barrier
	buffer_gl0_inv
	ds_read_b128 v[136:139], v100
	ds_read_b128 v[132:135], v100 offset:1728
	ds_read_b128 v[36:39], v100 offset:4608
	;; [unrolled: 1-line block ×11, first 2 shown]
	v_cmp_gt_u16_e64 s0, 0x48, v204
	s_and_saveexec_b32 s1, s0
	s_cbranch_execz .LBB0_9
; %bb.8:
	ds_read_b128 v[120:123], v100 offset:3456
	ds_read_b128 v[108:111], v100 offset:8064
	;; [unrolled: 1-line block ×6, first 2 shown]
.LBB0_9:
	s_or_b32 exec_lo, exec_lo, s1
	v_and_b32_e32 v51, 0xff, v204
	v_and_b32_e32 v52, 0xff, v50
	s_mov_b32 s4, 0xe8584caa
	s_mov_b32 s5, 0x3febb67a
	;; [unrolled: 1-line block ×3, first 2 shown]
	v_mul_lo_u16 v40, 0xab, v51
	v_mul_lo_u16 v42, 0xab, v52
	s_mov_b32 s12, s4
	v_lshrrev_b16 v58, 9, v40
	v_lshrrev_b16 v53, 9, v42
	v_mul_lo_u16 v40, v58, 3
	v_mul_lo_u16 v42, v53, 3
	v_sub_nc_u16 v40, v204, v40
	v_sub_nc_u16 v42, v50, v42
	v_and_b32_e32 v59, 0xff, v40
	v_and_b32_e32 v54, 0xff, v42
	v_mad_u64_u32 v[40:41], null, 0x50, v59, s[2:3]
	v_mad_u64_u32 v[42:43], null, 0x50, v54, s[2:3]
	s_clause 0x7
	global_load_dwordx4 v[64:67], v[40:41], off
	global_load_dwordx4 v[60:63], v[40:41], off offset:16
	global_load_dwordx4 v[92:95], v[40:41], off offset:32
	;; [unrolled: 1-line block ×4, first 2 shown]
	global_load_dwordx4 v[80:83], v[42:43], off
	global_load_dwordx4 v[72:75], v[42:43], off offset:16
	global_load_dwordx4 v[68:71], v[42:43], off offset:32
	s_waitcnt vmcnt(7) lgkmcnt(9)
	v_mul_f64 v[40:41], v[38:39], v[66:67]
	v_mul_f64 v[44:45], v[36:37], v[66:67]
	s_waitcnt vmcnt(6) lgkmcnt(7)
	v_mul_f64 v[46:47], v[34:35], v[62:63]
	v_mul_f64 v[48:49], v[32:33], v[62:63]
	v_fma_f64 v[36:37], v[36:37], v[64:65], -v[40:41]
	buffer_store_dword v64, off, s[24:27], 0 offset:292 ; 4-byte Folded Spill
	buffer_store_dword v65, off, s[24:27], 0 offset:296 ; 4-byte Folded Spill
	;; [unrolled: 1-line block ×4, first 2 shown]
	s_waitcnt vmcnt(5) lgkmcnt(5)
	v_mul_f64 v[40:41], v[30:31], v[94:95]
	v_fma_f64 v[32:33], v[32:33], v[60:61], -v[46:47]
	buffer_store_dword v60, off, s[24:27], 0 offset:276 ; 4-byte Folded Spill
	buffer_store_dword v61, off, s[24:27], 0 offset:280 ; 4-byte Folded Spill
	;; [unrolled: 1-line block ×4, first 2 shown]
	global_load_dwordx4 v[84:87], v[42:43], off offset:48
	s_waitcnt vmcnt(5) lgkmcnt(3)
	v_mul_f64 v[46:47], v[26:27], v[78:79]
	v_fma_f64 v[40:41], v[28:29], v[92:93], -v[40:41]
	v_fma_f64 v[38:39], v[38:39], v[64:65], v[44:45]
	v_mul_f64 v[44:45], v[28:29], v[94:95]
	v_fma_f64 v[34:35], v[34:35], v[60:61], v[48:49]
	v_mul_f64 v[48:49], v[24:25], v[78:79]
	v_fma_f64 v[24:25], v[24:25], v[76:77], -v[46:47]
	s_waitcnt vmcnt(3)
	v_mul_f64 v[46:47], v[18:19], v[82:83]
	v_fma_f64 v[28:29], v[30:31], v[92:93], v[44:45]
	s_waitcnt lgkmcnt(1)
	v_mul_f64 v[30:31], v[22:23], v[98:99]
	v_mul_f64 v[44:45], v[20:21], v[98:99]
	v_fma_f64 v[26:27], v[26:27], v[76:77], v[48:49]
	v_mul_f64 v[48:49], v[16:17], v[82:83]
	v_fma_f64 v[16:17], v[16:17], v[80:81], -v[46:47]
	v_fma_f64 v[30:31], v[20:21], v[96:97], -v[30:31]
	s_waitcnt vmcnt(2)
	v_mul_f64 v[20:21], v[14:15], v[74:75]
	v_fma_f64 v[22:23], v[22:23], v[96:97], v[44:45]
	v_mul_f64 v[44:45], v[12:13], v[74:75]
	v_fma_f64 v[18:19], v[18:19], v[80:81], v[48:49]
	v_fma_f64 v[12:13], v[12:13], v[72:73], -v[20:21]
	buffer_store_dword v72, off, s[24:27], 0 offset:340 ; 4-byte Folded Spill
	buffer_store_dword v73, off, s[24:27], 0 offset:344 ; 4-byte Folded Spill
	;; [unrolled: 1-line block ×4, first 2 shown]
	s_waitcnt vmcnt(1)
	v_mul_f64 v[20:21], v[10:11], v[70:71]
	v_fma_f64 v[20:21], v[8:9], v[68:69], -v[20:21]
	v_fma_f64 v[14:15], v[14:15], v[72:73], v[44:45]
	v_mul_f64 v[44:45], v[8:9], v[70:71]
	buffer_store_dword v68, off, s[24:27], 0 offset:320 ; 4-byte Folded Spill
	buffer_store_dword v69, off, s[24:27], 0 offset:324 ; 4-byte Folded Spill
	;; [unrolled: 1-line block ×4, first 2 shown]
	global_load_dwordx4 v[88:91], v[42:43], off offset:64
	v_fma_f64 v[8:9], v[10:11], v[68:69], v[44:45]
	s_waitcnt vmcnt(1)
	v_mul_f64 v[10:11], v[6:7], v[86:87]
	v_fma_f64 v[10:11], v[4:5], v[84:85], -v[10:11]
	v_mul_f64 v[4:5], v[4:5], v[86:87]
	v_fma_f64 v[4:5], v[6:7], v[84:85], v[4:5]
	s_waitcnt vmcnt(0) lgkmcnt(0)
	v_mul_f64 v[6:7], v[2:3], v[90:91]
	v_fma_f64 v[6:7], v[0:1], v[88:89], -v[6:7]
	v_mul_f64 v[0:1], v[0:1], v[90:91]
	v_fma_f64 v[0:1], v[2:3], v[88:89], v[0:1]
	v_mov_b32_e32 v2, 0xaaab
	v_mul_u32_u24_sdwa v2, v56, v2 dst_sel:DWORD dst_unused:UNUSED_PAD src0_sel:WORD_0 src1_sel:DWORD
	v_lshrrev_b32_e32 v55, 17, v2
	v_mul_lo_u16 v2, v55, 3
	v_sub_nc_u16 v57, v56, v2
	v_mul_lo_u16 v2, 0x50, v57
	v_and_b32_e32 v2, 0xffff, v2
	v_add_co_u32 v140, s1, s2, v2
	v_add_co_ci_u32_e64 v141, null, s3, 0, s1
	s_clause 0x1
	global_load_dwordx4 v[104:107], v[140:141], off
	global_load_dwordx4 v[60:63], v[140:141], off offset:16
	s_waitcnt vmcnt(1)
	v_mul_f64 v[2:3], v[110:111], v[106:107]
	v_mul_f64 v[42:43], v[108:109], v[106:107]
	s_waitcnt vmcnt(0)
	v_mul_f64 v[44:45], v[114:115], v[62:63]
	v_mul_f64 v[46:47], v[112:113], v[62:63]
	v_fma_f64 v[2:3], v[108:109], v[104:105], -v[2:3]
	v_fma_f64 v[42:43], v[110:111], v[104:105], v[42:43]
	v_fma_f64 v[44:45], v[112:113], v[60:61], -v[44:45]
	v_fma_f64 v[46:47], v[114:115], v[60:61], v[46:47]
	s_clause 0x1
	global_load_dwordx4 v[108:111], v[140:141], off offset:32
	global_load_dwordx4 v[112:115], v[140:141], off offset:48
	s_waitcnt vmcnt(1)
	v_mul_f64 v[48:49], v[118:119], v[110:111]
	v_fma_f64 v[142:143], v[116:117], v[108:109], -v[48:49]
	v_mul_f64 v[48:49], v[116:117], v[110:111]
	s_waitcnt vmcnt(0)
	v_mul_f64 v[116:117], v[130:131], v[114:115]
	v_add_f64 v[156:157], v[2:3], v[142:143]
	v_fma_f64 v[48:49], v[118:119], v[108:109], v[48:49]
	v_fma_f64 v[144:145], v[128:129], v[112:113], -v[116:117]
	v_mul_f64 v[116:117], v[128:129], v[114:115]
	v_add_f64 v[158:159], v[42:43], v[48:49]
	v_fma_f64 v[146:147], v[130:131], v[112:113], v[116:117]
	global_load_dwordx4 v[116:119], v[140:141], off offset:64
	v_add_f64 v[130:131], v[38:39], v[28:29]
	s_waitcnt vmcnt(0)
	s_waitcnt_vscnt null, 0x0
	s_barrier
	buffer_gl0_inv
	v_add_f64 v[130:131], v[130:131], v[22:23]
	v_mul_f64 v[128:129], v[126:127], v[118:119]
	v_fma_f64 v[140:141], v[124:125], v[116:117], -v[128:129]
	v_mul_f64 v[124:125], v[124:125], v[118:119]
	v_add_f64 v[128:129], v[36:37], v[40:41]
	v_add_f64 v[156:157], v[156:157], v[140:141]
	v_fma_f64 v[152:153], v[126:127], v[116:117], v[124:125]
	v_add_f64 v[124:125], v[32:33], v[24:25]
	v_add_f64 v[128:129], v[128:129], v[30:31]
	;; [unrolled: 1-line block ×4, first 2 shown]
	v_fma_f64 v[154:155], v[124:125], -0.5, v[136:137]
	v_add_f64 v[124:125], v[34:35], v[26:27]
	v_add_f64 v[126:127], v[126:127], v[26:27]
	v_add_f64 v[34:35], v[34:35], -v[26:27]
	v_fma_f64 v[160:161], v[124:125], -0.5, v[138:139]
	v_add_f64 v[124:125], v[136:137], v[32:33]
	v_add_f64 v[138:139], v[126:127], v[130:131]
	v_add_f64 v[150:151], v[126:127], -v[130:131]
	v_add_f64 v[126:127], v[134:135], v[14:15]
	v_add_f64 v[32:33], v[32:33], -v[24:25]
	v_add_f64 v[124:125], v[124:125], v[24:25]
	v_add_f64 v[130:131], v[126:127], v[4:5]
	;; [unrolled: 1-line block ×3, first 2 shown]
	v_add_f64 v[148:149], v[124:125], -v[128:129]
	v_add_f64 v[124:125], v[12:13], v[10:11]
	v_fma_f64 v[162:163], v[124:125], -0.5, v[132:133]
	v_add_f64 v[124:125], v[14:15], v[4:5]
	v_add_f64 v[14:15], v[14:15], -v[4:5]
	v_fma_f64 v[164:165], v[124:125], -0.5, v[134:135]
	v_add_f64 v[124:125], v[132:133], v[12:13]
	v_add_f64 v[12:13], v[12:13], -v[10:11]
	v_add_f64 v[128:129], v[124:125], v[10:11]
	v_add_f64 v[124:125], v[16:17], v[20:21]
	;; [unrolled: 1-line block ×6, first 2 shown]
	v_add_f64 v[128:129], v[128:129], -v[132:133]
	v_add_f64 v[132:133], v[44:45], v[144:145]
	v_add_f64 v[126:127], v[130:131], v[134:135]
	v_add_f64 v[130:131], v[130:131], -v[134:135]
	v_add_f64 v[134:135], v[46:47], v[146:147]
	v_fma_f64 v[132:133], v[132:133], -0.5, v[120:121]
	v_add_f64 v[120:121], v[120:121], v[44:45]
	v_fma_f64 v[134:135], v[134:135], -0.5, v[122:123]
	v_add_f64 v[122:123], v[122:123], v[46:47]
	v_add_f64 v[120:121], v[120:121], v[144:145]
	;; [unrolled: 1-line block ×4, first 2 shown]
	v_add_f64 v[156:157], v[120:121], -v[156:157]
	v_add_f64 v[120:121], v[40:41], v[30:31]
	v_add_f64 v[30:31], v[40:41], -v[30:31]
	v_add_f64 v[40:41], v[28:29], v[22:23]
	v_add_f64 v[182:183], v[122:123], v[158:159]
	v_add_f64 v[158:159], v[122:123], -v[158:159]
	v_fma_f64 v[122:123], v[32:33], s[12:13], v[160:161]
	v_fma_f64 v[36:37], v[120:121], -0.5, v[36:37]
	v_fma_f64 v[120:121], v[34:35], s[4:5], v[154:155]
	v_fma_f64 v[38:39], v[40:41], -0.5, v[38:39]
	v_add_f64 v[40:41], v[28:29], -v[22:23]
	v_fma_f64 v[34:35], v[34:35], s[12:13], v[154:155]
	v_fma_f64 v[22:23], v[30:31], s[12:13], v[38:39]
	;; [unrolled: 1-line block ×6, first 2 shown]
	v_mul_f64 v[26:27], v[22:23], s[4:5]
	v_mul_f64 v[32:33], v[36:37], -0.5
	v_fma_f64 v[26:27], v[24:25], 0.5, v[26:27]
	v_mul_f64 v[24:25], v[24:25], s[12:13]
	v_fma_f64 v[38:39], v[30:31], s[4:5], v[32:33]
	v_mul_f64 v[30:31], v[30:31], -0.5
	v_fma_f64 v[28:29], v[22:23], 0.5, v[24:25]
	v_add_f64 v[22:23], v[120:121], v[26:27]
	v_fma_f64 v[36:37], v[36:37], s[12:13], v[30:31]
	v_add_f64 v[30:31], v[34:35], v[38:39]
	v_add_f64 v[34:35], v[34:35], -v[38:39]
	v_add_f64 v[38:39], v[20:21], v[6:7]
	v_add_f64 v[20:21], v[20:21], -v[6:7]
	;; [unrolled: 2-line block ×3, first 2 shown]
	v_add_f64 v[26:27], v[120:121], -v[26:27]
	v_add_f64 v[24:25], v[122:123], v[28:29]
	v_add_f64 v[28:29], v[122:123], -v[28:29]
	v_add_f64 v[32:33], v[40:41], v[36:37]
	v_add_f64 v[36:37], v[40:41], -v[36:37]
	v_fma_f64 v[40:41], v[12:13], s[12:13], v[164:165]
	v_fma_f64 v[16:17], v[38:39], -0.5, v[16:17]
	v_fma_f64 v[38:39], v[14:15], s[4:5], v[162:163]
	v_fma_f64 v[18:19], v[6:7], -0.5, v[18:19]
	v_fma_f64 v[6:7], v[0:1], s[4:5], v[16:17]
	v_fma_f64 v[0:1], v[0:1], s[12:13], v[16:17]
	;; [unrolled: 1-line block ×4, first 2 shown]
	v_mul_f64 v[14:15], v[0:1], -0.5
	v_mul_f64 v[8:9], v[4:5], s[4:5]
	v_fma_f64 v[8:9], v[6:7], 0.5, v[8:9]
	v_mul_f64 v[6:7], v[6:7], s[12:13]
	v_fma_f64 v[10:11], v[4:5], 0.5, v[6:7]
	v_add_f64 v[4:5], v[38:39], v[8:9]
	v_add_f64 v[8:9], v[38:39], -v[8:9]
	v_fma_f64 v[38:39], v[12:13], s[4:5], v[164:165]
	v_fma_f64 v[12:13], v[20:21], s[4:5], v[18:19]
	v_add_f64 v[20:21], v[142:143], -v[140:141]
	v_add_f64 v[6:7], v[40:41], v[10:11]
	v_add_f64 v[10:11], v[40:41], -v[10:11]
	v_add_f64 v[40:41], v[46:47], -v[146:147]
	v_fma_f64 v[18:19], v[12:13], s[4:5], v[14:15]
	v_mul_f64 v[12:13], v[12:13], -0.5
	v_fma_f64 v[0:1], v[0:1], s[12:13], v[12:13]
	v_add_f64 v[12:13], v[16:17], v[18:19]
	v_add_f64 v[16:17], v[16:17], -v[18:19]
	v_add_f64 v[14:15], v[38:39], v[0:1]
	v_add_f64 v[18:19], v[38:39], -v[0:1]
	v_add_f64 v[38:39], v[48:49], v[152:153]
	v_add_f64 v[0:1], v[142:143], v[140:141]
	v_fma_f64 v[38:39], v[38:39], -0.5, v[42:43]
	v_add_f64 v[42:43], v[44:45], -v[144:145]
	v_add_f64 v[44:45], v[48:49], -v[152:153]
	v_fma_f64 v[0:1], v[0:1], -0.5, v[2:3]
	v_fma_f64 v[2:3], v[20:21], s[12:13], v[38:39]
	v_fma_f64 v[20:21], v[20:21], s[4:5], v[38:39]
	;; [unrolled: 1-line block ×5, first 2 shown]
	v_mul_f64 v[48:49], v[2:3], s[4:5]
	v_mul_f64 v[38:39], v[0:1], -0.5
	v_fma_f64 v[48:49], v[46:47], 0.5, v[48:49]
	v_mul_f64 v[46:47], v[46:47], s[12:13]
	v_fma_f64 v[38:39], v[20:21], s[4:5], v[38:39]
	v_mul_f64 v[20:21], v[20:21], -0.5
	v_fma_f64 v[2:3], v[2:3], 0.5, v[46:47]
	v_fma_f64 v[46:47], v[40:41], s[4:5], v[132:133]
	v_fma_f64 v[0:1], v[0:1], s[12:13], v[20:21]
	v_add_f64 v[142:143], v[120:121], v[2:3]
	v_add_f64 v[190:191], v[120:121], -v[2:3]
	v_fma_f64 v[2:3], v[40:41], s[12:13], v[132:133]
	v_fma_f64 v[40:41], v[42:43], s[4:5], v[134:135]
	v_add_f64 v[140:141], v[46:47], v[48:49]
	v_add_f64 v[188:189], v[46:47], -v[48:49]
	v_add_f64 v[144:145], v[2:3], v[38:39]
	v_add_f64 v[146:147], v[40:41], v[0:1]
	v_add_f64 v[184:185], v[2:3], -v[38:39]
	v_add_f64 v[186:187], v[40:41], -v[0:1]
	v_mov_b32_e32 v0, 18
	v_mad_u16 v2, v55, 18, v57
	v_mul_u32_u24_sdwa v1, v58, v0 dst_sel:DWORD dst_unused:UNUSED_PAD src0_sel:WORD_0 src1_sel:DWORD
	v_mul_u32_u24_sdwa v0, v53, v0 dst_sel:DWORD dst_unused:UNUSED_PAD src0_sel:WORD_0 src1_sel:DWORD
	v_add_lshl_u32 v1, v1, v59, 4
	v_add_lshl_u32 v0, v0, v54, 4
	ds_write_b128 v1, v[136:139]
	ds_write_b128 v1, v[148:151] offset:144
	ds_write_b128 v1, v[22:25] offset:48
	;; [unrolled: 1-line block ×3, first 2 shown]
	buffer_store_dword v2, off, s[24:27], 0 offset:372 ; 4-byte Folded Spill
	ds_write_b128 v1, v[26:29] offset:192
	buffer_store_dword v1, off, s[24:27], 0 offset:364 ; 4-byte Folded Spill
	ds_write_b128 v1, v[34:37] offset:240
	ds_write_b128 v0, v[124:127]
	ds_write_b128 v0, v[4:7] offset:48
	ds_write_b128 v0, v[12:15] offset:96
	;; [unrolled: 1-line block ×4, first 2 shown]
	buffer_store_dword v0, off, s[24:27], 0 offset:368 ; 4-byte Folded Spill
	ds_write_b128 v0, v[16:19] offset:240
	s_and_saveexec_b32 s1, s0
	s_cbranch_execz .LBB0_11
; %bb.10:
	buffer_load_dword v1, off, s[24:27], 0 offset:372 ; 4-byte Folded Reload
	v_mov_b32_e32 v0, 4
	s_waitcnt vmcnt(0)
	v_lshlrev_b32_sdwa v0, v0, v1 dst_sel:DWORD dst_unused:UNUSED_PAD src0_sel:DWORD src1_sel:WORD_0
	ds_write_b128 v0, v[180:183]
	ds_write_b128 v0, v[140:143] offset:48
	ds_write_b128 v0, v[144:147] offset:96
	;; [unrolled: 1-line block ×5, first 2 shown]
.LBB0_11:
	s_or_b32 exec_lo, exec_lo, s1
	s_waitcnt lgkmcnt(0)
	s_waitcnt_vscnt null, 0x0
	s_barrier
	buffer_gl0_inv
	ds_read_b128 v[196:199], v100
	ds_read_b128 v[192:195], v100 offset:1728
	ds_read_b128 v[36:39], v100 offset:4608
	ds_read_b128 v[16:19], v100 offset:6336
	ds_read_b128 v[32:35], v100 offset:9216
	ds_read_b128 v[12:15], v100 offset:10944
	ds_read_b128 v[28:31], v100 offset:13824
	ds_read_b128 v[8:11], v100 offset:15552
	ds_read_b128 v[24:27], v100 offset:18432
	ds_read_b128 v[4:7], v100 offset:20160
	ds_read_b128 v[20:23], v100 offset:23040
	ds_read_b128 v[0:3], v100 offset:24768
	s_and_saveexec_b32 s1, s0
	s_cbranch_execz .LBB0_13
; %bb.12:
	ds_read_b128 v[180:183], v100 offset:3456
	ds_read_b128 v[140:143], v100 offset:8064
	;; [unrolled: 1-line block ×6, first 2 shown]
.LBB0_13:
	s_or_b32 exec_lo, exec_lo, s1
	v_mul_lo_u16 v40, v51, 57
	v_mul_lo_u16 v42, v52, 57
	s_mov_b32 s12, 0xe8584caa
	s_mov_b32 s13, 0x3febb67a
	s_mov_b32 s5, 0xbfebb67a
	v_lshrrev_b16 v103, 10, v40
	v_lshrrev_b16 v58, 10, v42
	s_mov_b32 s4, s12
	v_mul_lo_u16 v40, v103, 18
	v_mul_lo_u16 v42, v58, 18
	v_sub_nc_u16 v40, v204, v40
	v_and_b32_e32 v132, 0xff, v40
	v_mad_u64_u32 v[40:41], null, 0x50, v132, s[2:3]
	s_clause 0x4
	global_load_dwordx4 v[120:123], v[40:41], off offset:240
	global_load_dwordx4 v[124:127], v[40:41], off offset:256
	;; [unrolled: 1-line block ×5, first 2 shown]
	v_sub_nc_u16 v40, v50, v42
	v_and_b32_e32 v57, 0xff, v40
	v_mad_u64_u32 v[40:41], null, 0x50, v57, s[2:3]
	s_clause 0x4
	global_load_dwordx4 v[148:151], v[40:41], off offset:240
	global_load_dwordx4 v[152:155], v[40:41], off offset:256
	;; [unrolled: 1-line block ×5, first 2 shown]
	s_waitcnt vmcnt(9) lgkmcnt(9)
	v_mul_f64 v[40:41], v[38:39], v[122:123]
	v_mul_f64 v[42:43], v[36:37], v[122:123]
	s_waitcnt vmcnt(8) lgkmcnt(7)
	v_mul_f64 v[44:45], v[34:35], v[126:127]
	v_fma_f64 v[36:37], v[36:37], v[120:121], -v[40:41]
	v_fma_f64 v[38:39], v[38:39], v[120:121], v[42:43]
	v_mul_f64 v[40:41], v[32:33], v[126:127]
	s_waitcnt vmcnt(7) lgkmcnt(5)
	v_mul_f64 v[42:43], v[30:31], v[166:167]
	v_fma_f64 v[32:33], v[32:33], v[124:125], -v[44:45]
	s_waitcnt vmcnt(6) lgkmcnt(3)
	v_mul_f64 v[44:45], v[26:27], v[130:131]
	v_fma_f64 v[34:35], v[34:35], v[124:125], v[40:41]
	v_mul_f64 v[40:41], v[28:29], v[166:167]
	v_fma_f64 v[42:43], v[28:29], v[164:165], -v[42:43]
	v_mul_f64 v[28:29], v[24:25], v[130:131]
	v_fma_f64 v[44:45], v[24:25], v[128:129], -v[44:45]
	s_waitcnt vmcnt(5) lgkmcnt(1)
	v_mul_f64 v[24:25], v[20:21], v[178:179]
	v_add_f64 v[135:136], v[198:199], v[34:35]
	v_fma_f64 v[40:41], v[30:31], v[164:165], v[40:41]
	v_mul_f64 v[30:31], v[22:23], v[178:179]
	v_fma_f64 v[46:47], v[26:27], v[128:129], v[28:29]
	s_waitcnt vmcnt(4)
	v_mul_f64 v[26:27], v[18:19], v[150:151]
	v_fma_f64 v[48:49], v[22:23], v[176:177], v[24:25]
	v_mul_f64 v[22:23], v[16:17], v[150:151]
	s_waitcnt vmcnt(3)
	v_mul_f64 v[24:25], v[14:15], v[154:155]
	v_add_f64 v[133:134], v[32:33], v[44:45]
	v_fma_f64 v[50:51], v[20:21], v[176:177], -v[30:31]
	v_fma_f64 v[20:21], v[16:17], v[148:149], -v[26:27]
	v_mul_f64 v[16:17], v[12:13], v[154:155]
	v_fma_f64 v[22:23], v[18:19], v[148:149], v[22:23]
	s_waitcnt vmcnt(2)
	v_mul_f64 v[18:19], v[10:11], v[170:171]
	v_fma_f64 v[24:25], v[12:13], v[152:153], -v[24:25]
	v_mul_f64 v[12:13], v[8:9], v[170:171]
	v_fma_f64 v[137:138], v[133:134], -0.5, v[196:197]
	v_add_f64 v[133:134], v[34:35], v[46:47]
	v_fma_f64 v[26:27], v[14:15], v[152:153], v[16:17]
	s_waitcnt vmcnt(1)
	v_mul_f64 v[14:15], v[6:7], v[162:163]
	v_fma_f64 v[30:31], v[8:9], v[168:169], -v[18:19]
	v_mul_f64 v[8:9], v[4:5], v[162:163]
	v_fma_f64 v[28:29], v[10:11], v[168:169], v[12:13]
	v_mov_b32_e32 v10, 0xe38f
	v_mul_u32_u24_sdwa v10, v56, v10 dst_sel:DWORD dst_unused:UNUSED_PAD src0_sel:WORD_0 src1_sel:DWORD
	v_lshrrev_b32_e32 v59, 20, v10
	v_fma_f64 v[52:53], v[4:5], v[160:161], -v[14:15]
	s_waitcnt vmcnt(0) lgkmcnt(0)
	v_mul_f64 v[4:5], v[2:3], v[174:175]
	v_fma_f64 v[54:55], v[6:7], v[160:161], v[8:9]
	v_mul_lo_u16 v8, v59, 18
	v_mul_f64 v[6:7], v[0:1], v[174:175]
	v_sub_nc_u16 v56, v56, v8
	v_mul_lo_u16 v8, 0x50, v56
	v_and_b32_e32 v8, 0xffff, v8
	v_add_co_u32 v16, s1, s2, v8
	v_add_co_ci_u32_e64 v17, null, s3, 0, s1
	v_fma_f64 v[202:203], v[0:1], v[172:173], -v[4:5]
	v_fma_f64 v[200:201], v[2:3], v[172:173], v[6:7]
	s_clause 0x1
	global_load_dwordx4 v[4:7], v[16:17], off offset:240
	global_load_dwordx4 v[8:11], v[16:17], off offset:256
	s_waitcnt vmcnt(1)
	v_mul_f64 v[0:1], v[142:143], v[6:7]
	v_mul_f64 v[2:3], v[140:141], v[6:7]
	v_fma_f64 v[0:1], v[140:141], v[4:5], -v[0:1]
	buffer_store_dword v4, off, s[24:27], 0 offset:396 ; 4-byte Folded Spill
	buffer_store_dword v5, off, s[24:27], 0 offset:400 ; 4-byte Folded Spill
	;; [unrolled: 1-line block ×4, first 2 shown]
	s_waitcnt vmcnt(0)
	v_mul_f64 v[6:7], v[144:145], v[10:11]
	v_fma_f64 v[139:140], v[133:134], -0.5, v[198:199]
	v_add_f64 v[133:134], v[196:197], v[32:33]
	v_fma_f64 v[4:5], v[142:143], v[4:5], v[2:3]
	v_mul_f64 v[2:3], v[146:147], v[10:11]
	v_add_f64 v[141:142], v[133:134], v[44:45]
	v_add_f64 v[133:134], v[36:37], v[42:43]
	v_add_f64 v[44:45], v[32:33], -v[44:45]
	v_fma_f64 v[2:3], v[144:145], v[8:9], -v[2:3]
	buffer_store_dword v8, off, s[24:27], 0 offset:380 ; 4-byte Folded Spill
	buffer_store_dword v9, off, s[24:27], 0 offset:384 ; 4-byte Folded Spill
	;; [unrolled: 1-line block ×4, first 2 shown]
	s_clause 0x1
	global_load_dwordx4 v[12:15], v[16:17], off offset:272
	global_load_dwordx4 v[64:67], v[16:17], off offset:288
	v_add_f64 v[143:144], v[135:136], v[46:47]
	v_add_f64 v[46:47], v[34:35], -v[46:47]
	v_fma_f64 v[8:9], v[146:147], v[8:9], v[6:7]
	v_add_f64 v[145:146], v[133:134], v[50:51]
	v_add_f64 v[133:134], v[38:39], v[40:41]
	s_waitcnt vmcnt(1)
	v_mul_f64 v[6:7], v[158:159], v[14:15]
	v_mul_f64 v[10:11], v[156:157], v[14:15]
	v_add_f64 v[196:197], v[141:142], -v[145:146]
	v_fma_f64 v[6:7], v[156:157], v[12:13], -v[6:7]
	buffer_store_dword v12, off, s[24:27], 0 offset:428 ; 4-byte Folded Spill
	buffer_store_dword v13, off, s[24:27], 0 offset:432 ; 4-byte Folded Spill
	;; [unrolled: 1-line block ×4, first 2 shown]
	v_fma_f64 v[14:15], v[158:159], v[12:13], v[10:11]
	s_waitcnt vmcnt(0)
	v_mul_f64 v[10:11], v[190:191], v[66:67]
	v_mul_f64 v[12:13], v[188:189], v[66:67]
	v_fma_f64 v[10:11], v[188:189], v[64:65], -v[10:11]
	buffer_store_dword v64, off, s[24:27], 0 offset:412 ; 4-byte Folded Spill
	buffer_store_dword v65, off, s[24:27], 0 offset:416 ; 4-byte Folded Spill
	;; [unrolled: 1-line block ×4, first 2 shown]
	v_add_f64 v[188:189], v[22:23], v[28:29]
	v_fma_f64 v[12:13], v[190:191], v[64:65], v[12:13]
	global_load_dwordx4 v[64:67], v[16:17], off offset:304
	s_waitcnt vmcnt(0)
	v_mul_f64 v[16:17], v[186:187], v[66:67]
	v_mul_f64 v[18:19], v[184:185], v[66:67]
	v_fma_f64 v[16:17], v[184:185], v[64:65], -v[16:17]
	buffer_store_dword v64, off, s[24:27], 0 offset:444 ; 4-byte Folded Spill
	buffer_store_dword v65, off, s[24:27], 0 offset:448 ; 4-byte Folded Spill
	;; [unrolled: 1-line block ×4, first 2 shown]
	v_add_f64 v[184:185], v[133:134], v[48:49]
	v_add_f64 v[133:134], v[141:142], v[145:146]
	s_waitcnt_vscnt null, 0x0
	s_barrier
	buffer_gl0_inv
	v_add_f64 v[145:146], v[192:193], v[24:25]
	v_add_f64 v[141:142], v[24:25], v[52:53]
	v_add_f64 v[24:25], v[24:25], -v[52:53]
	v_add_f64 v[135:136], v[143:144], v[184:185]
	v_add_f64 v[198:199], v[143:144], -v[184:185]
	v_add_f64 v[184:185], v[194:195], v[26:27]
	v_add_f64 v[143:144], v[26:27], v[54:55]
	v_add_f64 v[26:27], v[26:27], -v[54:55]
	v_add_f64 v[145:146], v[145:146], v[52:53]
	v_fma_f64 v[141:142], v[141:142], -0.5, v[192:193]
	v_add_f64 v[192:193], v[188:189], v[200:201]
	v_fma_f64 v[143:144], v[143:144], -0.5, v[194:195]
	v_fma_f64 v[18:19], v[186:187], v[64:65], v[18:19]
	v_mov_b32_e32 v64, 0x6c
	v_add_f64 v[186:187], v[184:185], v[54:55]
	v_add_f64 v[184:185], v[20:21], v[30:31]
	v_mul_u32_u24_sdwa v65, v103, v64 dst_sel:DWORD dst_unused:UNUSED_PAD src0_sel:WORD_0 src1_sel:DWORD
	v_add_lshl_u32 v103, v65, v132, 4
	ds_write_b128 v103, v[133:136]
	ds_write_b128 v103, v[196:199] offset:864
	v_add_f64 v[132:133], v[42:43], v[50:51]
	v_add_f64 v[42:43], v[42:43], -v[50:51]
	v_add_f64 v[50:51], v[40:41], v[48:49]
	v_add_f64 v[40:41], v[40:41], -v[48:49]
	v_fma_f64 v[134:135], v[44:45], s[4:5], v[139:140]
	v_add_f64 v[190:191], v[186:187], v[192:193]
	v_add_f64 v[186:187], v[186:187], -v[192:193]
	v_add_f64 v[184:185], v[184:185], v[202:203]
	v_fma_f64 v[48:49], v[132:133], -0.5, v[36:37]
	v_fma_f64 v[132:133], v[46:47], s[12:13], v[137:138]
	v_fma_f64 v[50:51], v[50:51], -0.5, v[38:39]
	v_fma_f64 v[46:47], v[46:47], s[4:5], v[137:138]
	v_add_f64 v[188:189], v[145:146], v[184:185]
	v_add_f64 v[184:185], v[145:146], -v[184:185]
	v_fma_f64 v[34:35], v[40:41], s[12:13], v[48:49]
	v_fma_f64 v[40:41], v[40:41], s[4:5], v[48:49]
	;; [unrolled: 1-line block ×5, first 2 shown]
	v_mul_f64 v[44:45], v[40:41], -0.5
	v_mul_f64 v[36:37], v[32:33], s[12:13]
	v_fma_f64 v[44:45], v[42:43], s[12:13], v[44:45]
	v_mul_f64 v[42:43], v[42:43], -0.5
	v_fma_f64 v[36:37], v[34:35], 0.5, v[36:37]
	v_mul_f64 v[34:35], v[34:35], s[4:5]
	v_fma_f64 v[50:51], v[40:41], s[4:5], v[42:43]
	v_add_f64 v[40:41], v[46:47], v[44:45]
	v_add_f64 v[44:45], v[46:47], -v[44:45]
	v_fma_f64 v[38:39], v[32:33], 0.5, v[34:35]
	v_add_f64 v[32:33], v[132:133], v[36:37]
	v_add_f64 v[36:37], v[132:133], -v[36:37]
	v_fma_f64 v[132:133], v[26:27], s[12:13], v[141:142]
	v_fma_f64 v[26:27], v[26:27], s[4:5], v[141:142]
	v_add_f64 v[42:43], v[48:49], v[50:51]
	v_add_f64 v[46:47], v[48:49], -v[50:51]
	v_add_f64 v[48:49], v[30:31], v[202:203]
	v_add_f64 v[50:51], v[28:29], v[200:201]
	v_add_f64 v[30:31], v[30:31], -v[202:203]
	v_add_f64 v[28:29], v[28:29], -v[200:201]
	v_add_f64 v[34:35], v[134:135], v[38:39]
	v_add_f64 v[38:39], v[134:135], -v[38:39]
	v_fma_f64 v[134:135], v[24:25], s[4:5], v[143:144]
	v_fma_f64 v[24:25], v[24:25], s[12:13], v[143:144]
	ds_write_b128 v103, v[32:35] offset:288
	ds_write_b128 v103, v[40:43] offset:576
	;; [unrolled: 1-line block ×3, first 2 shown]
	v_fma_f64 v[22:23], v[50:51], -0.5, v[22:23]
	v_fma_f64 v[20:21], v[48:49], -0.5, v[20:21]
	v_add_f64 v[34:35], v[14:15], -v[18:19]
	ds_write_b128 v103, v[44:47] offset:1440
	v_fma_f64 v[48:49], v[30:31], s[4:5], v[22:23]
	v_fma_f64 v[50:51], v[28:29], s[12:13], v[20:21]
	;; [unrolled: 1-line block ×4, first 2 shown]
	v_mul_f64 v[52:53], v[48:49], s[12:13]
	v_mul_f64 v[28:29], v[20:21], -0.5
	v_fma_f64 v[52:53], v[50:51], 0.5, v[52:53]
	v_mul_f64 v[50:51], v[50:51], s[4:5]
	v_fma_f64 v[28:29], v[22:23], s[12:13], v[28:29]
	v_mul_f64 v[22:23], v[22:23], -0.5
	v_fma_f64 v[54:55], v[48:49], 0.5, v[50:51]
	v_add_f64 v[48:49], v[132:133], v[52:53]
	v_fma_f64 v[20:21], v[20:21], s[4:5], v[22:23]
	v_add_f64 v[52:53], v[132:133], -v[52:53]
	v_add_f64 v[132:133], v[26:27], v[28:29]
	v_add_f64 v[192:193], v[26:27], -v[28:29]
	v_mul_u32_u24_sdwa v26, v58, v64 dst_sel:DWORD dst_unused:UNUSED_PAD src0_sel:WORD_0 src1_sel:DWORD
	v_add_f64 v[22:23], v[8:9], v[12:13]
	v_add_f64 v[28:29], v[2:3], -v[10:11]
	v_add_lshl_u32 v136, v26, v57, 4
	v_add_f64 v[26:27], v[8:9], -v[12:13]
	ds_write_b128 v136, v[188:191]
	v_add_f64 v[50:51], v[134:135], v[54:55]
	v_add_f64 v[54:55], v[134:135], -v[54:55]
	v_add_f64 v[134:135], v[24:25], v[20:21]
	v_add_f64 v[194:195], v[24:25], -v[20:21]
	v_add_f64 v[20:21], v[2:3], v[10:11]
	v_add_f64 v[24:25], v[6:7], v[16:17]
	v_fma_f64 v[32:33], v[22:23], -0.5, v[182:183]
	ds_write_b128 v136, v[48:51] offset:288
	ds_write_b128 v136, v[132:135] offset:576
	v_fma_f64 v[30:31], v[20:21], -0.5, v[180:181]
	v_fma_f64 v[36:37], v[24:25], -0.5, v[0:1]
	v_fma_f64 v[24:25], v[28:29], s[4:5], v[32:33]
	v_fma_f64 v[28:29], v[28:29], s[12:13], v[32:33]
	v_add_f64 v[32:33], v[6:7], -v[16:17]
	v_fma_f64 v[20:21], v[26:27], s[12:13], v[30:31]
	v_fma_f64 v[22:23], v[26:27], s[4:5], v[30:31]
	v_add_f64 v[26:27], v[14:15], v[18:19]
	v_fma_f64 v[30:31], v[34:35], s[12:13], v[36:37]
	v_fma_f64 v[34:35], v[34:35], s[4:5], v[36:37]
	v_fma_f64 v[26:27], v[26:27], -0.5, v[4:5]
	v_fma_f64 v[36:37], v[32:33], s[4:5], v[26:27]
	v_fma_f64 v[38:39], v[32:33], s[12:13], v[26:27]
	v_mul_f64 v[26:27], v[36:37], s[12:13]
	v_fma_f64 v[26:27], v[30:31], 0.5, v[26:27]
	v_mul_f64 v[30:31], v[30:31], s[4:5]
	v_add_f64 v[244:245], v[20:21], -v[26:27]
	v_fma_f64 v[32:33], v[36:37], 0.5, v[30:31]
	v_mul_f64 v[30:31], v[34:35], -0.5
	v_mul_f64 v[36:37], v[38:39], -0.5
	v_add_f64 v[246:247], v[24:25], -v[32:33]
	v_fma_f64 v[30:31], v[38:39], s[12:13], v[30:31]
	v_fma_f64 v[34:35], v[34:35], s[4:5], v[36:37]
	v_mad_u16 v36, 0x6c, v59, v56
	buffer_store_dword v36, off, s[24:27], 0 offset:376 ; 4-byte Folded Spill
	ds_write_b128 v136, v[184:187] offset:864
	ds_write_b128 v136, v[52:55] offset:1152
	;; [unrolled: 1-line block ×3, first 2 shown]
	v_add_f64 v[240:241], v[22:23], -v[30:31]
	v_add_f64 v[242:243], v[28:29], -v[34:35]
	s_and_saveexec_b32 s1, s0
	s_cbranch_execz .LBB0_15
; %bb.14:
	v_add_f64 v[8:9], v[182:183], v[8:9]
	v_add_f64 v[4:5], v[4:5], v[14:15]
	;; [unrolled: 1-line block ×12, first 2 shown]
	v_add_f64 v[10:11], v[8:9], -v[12:13]
	v_add_f64 v[14:15], v[8:9], v[12:13]
	v_add_f64 v[12:13], v[18:19], v[16:17]
	v_add_f64 v[8:9], v[18:19], -v[16:17]
	buffer_load_dword v17, off, s[24:27], 0 offset:376 ; 4-byte Folded Reload
	v_mov_b32_e32 v16, 4
	s_waitcnt vmcnt(0)
	v_lshlrev_b32_sdwa v16, v16, v17 dst_sel:DWORD dst_unused:UNUSED_PAD src0_sel:DWORD src1_sel:WORD_0
	ds_write_b128 v16, v[244:247] offset:1152
	ds_write_b128 v16, v[4:7] offset:288
	;; [unrolled: 1-line block ×3, first 2 shown]
	ds_write_b128 v16, v[12:15]
	ds_write_b128 v16, v[8:11] offset:864
	ds_write_b128 v16, v[240:243] offset:1440
.LBB0_15:
	s_or_b32 exec_lo, exec_lo, s1
	v_mad_u64_u32 v[40:41], null, 0xf0, v204, s[2:3]
	s_waitcnt lgkmcnt(0)
	s_waitcnt_vscnt null, 0x0
	s_barrier
	buffer_gl0_inv
	v_mov_b32_e32 v147, v204
	s_mov_b32 s2, 0x667f3bcd
	s_mov_b32 s3, 0xbfe6a09e
	s_clause 0xd
	global_load_dwordx4 v[192:195], v[40:41], off offset:1680
	global_load_dwordx4 v[188:191], v[40:41], off offset:1696
	;; [unrolled: 1-line block ×14, first 2 shown]
	ds_read_b128 v[0:3], v100 offset:1728
	ds_read_b128 v[4:7], v100 offset:3456
	;; [unrolled: 1-line block ×5, first 2 shown]
	ds_read_b128 v[20:23], v100
	ds_read_b128 v[24:27], v100 offset:10368
	ds_read_b128 v[28:31], v100 offset:12096
	;; [unrolled: 1-line block ×4, first 2 shown]
	s_mov_b32 s5, 0x3fe6a09e
	s_mov_b32 s4, s2
	;; [unrolled: 1-line block ×10, first 2 shown]
	s_waitcnt vmcnt(8) lgkmcnt(3)
	v_mul_f64 v[134:135], v[26:27], v[206:207]
	v_mul_f64 v[42:43], v[2:3], v[194:195]
	;; [unrolled: 1-line block ×11, first 2 shown]
	v_fma_f64 v[137:138], v[0:1], v[192:193], -v[42:43]
	v_fma_f64 v[139:140], v[2:3], v[192:193], v[44:45]
	ds_read_b128 v[0:3], v100 offset:15552
	s_waitcnt vmcnt(7) lgkmcnt(3)
	v_mul_f64 v[44:45], v[30:31], v[198:199]
	v_fma_f64 v[141:142], v[4:5], v[188:189], -v[46:47]
	v_fma_f64 v[48:49], v[6:7], v[188:189], v[48:49]
	v_mul_f64 v[46:47], v[28:29], v[198:199]
	v_fma_f64 v[54:55], v[12:13], v[184:185], -v[54:55]
	v_fma_f64 v[56:57], v[14:15], v[184:185], v[56:57]
	ds_read_b128 v[4:7], v100 offset:22464
	s_waitcnt vmcnt(6) lgkmcnt(2)
	v_mul_f64 v[12:13], v[38:39], v[202:203]
	v_fma_f64 v[58:59], v[16:17], v[208:209], -v[58:59]
	v_mul_f64 v[14:15], v[36:37], v[202:203]
	s_waitcnt vmcnt(5)
	v_mul_f64 v[16:17], v[34:35], v[214:215]
	v_fma_f64 v[50:51], v[8:9], v[180:181], -v[50:51]
	v_fma_f64 v[52:53], v[10:11], v[180:181], v[52:53]
	ds_read_b128 v[8:11], v100 offset:17280
	v_mul_f64 v[42:43], v[24:25], v[206:207]
	v_fma_f64 v[132:133], v[18:19], v[208:209], v[132:133]
	v_fma_f64 v[24:25], v[24:25], v[204:205], -v[134:135]
	v_mul_f64 v[18:19], v[32:33], v[214:215]
	v_fma_f64 v[134:135], v[28:29], v[196:197], -v[44:45]
	v_fma_f64 v[143:144], v[30:31], v[196:197], v[46:47]
	v_fma_f64 v[28:29], v[36:37], v[200:201], -v[12:13]
	v_fma_f64 v[30:31], v[38:39], v[200:201], v[14:15]
	ds_read_b128 v[12:15], v100 offset:19008
	s_waitcnt vmcnt(4) lgkmcnt(1)
	v_mul_f64 v[36:37], v[10:11], v[218:219]
	v_fma_f64 v[32:33], v[32:33], v[212:213], -v[16:17]
	v_mul_f64 v[16:17], v[8:9], v[218:219]
	v_fma_f64 v[26:27], v[26:27], v[204:205], v[42:43]
	v_fma_f64 v[34:35], v[34:35], v[212:213], v[18:19]
	v_fma_f64 v[36:37], v[8:9], v[216:217], -v[36:37]
	v_fma_f64 v[38:39], v[10:11], v[216:217], v[16:17]
	ds_read_b128 v[8:11], v100 offset:24192
	ds_read_b128 v[16:19], v100 offset:25920
	global_load_dwordx4 v[236:239], v[40:41], off offset:1904
	buffer_store_dword v147, off, s[24:27], 0 offset:64 ; 4-byte Folded Spill
	s_waitcnt vmcnt(4) lgkmcnt(1)
	v_mul_f64 v[42:43], v[10:11], v[222:223]
	v_fma_f64 v[42:43], v[8:9], v[220:221], -v[42:43]
	v_mul_f64 v[8:9], v[8:9], v[222:223]
	v_fma_f64 v[8:9], v[10:11], v[220:221], v[8:9]
	s_waitcnt vmcnt(3)
	v_mul_f64 v[10:11], v[2:3], v[226:227]
	v_add_f64 v[40:41], v[26:27], -v[8:9]
	v_fma_f64 v[10:11], v[0:1], v[224:225], -v[10:11]
	v_mul_f64 v[0:1], v[0:1], v[226:227]
	v_fma_f64 v[44:45], v[2:3], v[224:225], v[0:1]
	s_waitcnt vmcnt(2)
	v_mul_f64 v[0:1], v[6:7], v[230:231]
	v_add_f64 v[2:3], v[22:23], -v[30:31]
	v_add_f64 v[8:9], v[139:140], -v[44:45]
	v_fma_f64 v[46:47], v[4:5], v[228:229], -v[0:1]
	v_mul_f64 v[0:1], v[4:5], v[230:231]
	v_add_f64 v[4:5], v[141:142], -v[36:37]
	v_fma_f64 v[145:146], v[6:7], v[228:229], v[0:1]
	s_waitcnt vmcnt(1)
	v_mul_f64 v[0:1], v[14:15], v[234:235]
	v_add_f64 v[6:7], v[48:49], -v[38:39]
	v_add_f64 v[38:39], v[58:59], -v[46:47]
	v_fma_f64 v[248:249], v[12:13], v[232:233], -v[0:1]
	v_mul_f64 v[0:1], v[12:13], v[234:235]
	v_add_f64 v[12:13], v[137:138], -v[10:11]
	v_fma_f64 v[58:59], v[58:59], 2.0, -v[38:39]
	v_add_f64 v[38:39], v[8:9], v[38:39]
	v_fma_f64 v[250:251], v[14:15], v[232:233], v[0:1]
	v_add_f64 v[14:15], v[50:51], -v[248:249]
	v_add_f64 v[10:11], v[52:53], -v[250:251]
	v_fma_f64 v[30:31], v[50:51], 2.0, -v[14:15]
	v_fma_f64 v[36:37], v[52:53], 2.0, -v[10:11]
	s_waitcnt vmcnt(0) lgkmcnt(0)
	v_mul_f64 v[0:1], v[16:17], v[238:239]
	v_fma_f64 v[252:253], v[18:19], v[236:237], v[0:1]
	v_mul_f64 v[0:1], v[18:19], v[238:239]
	v_fma_f64 v[18:19], v[22:23], 2.0, -v[2:3]
	v_fma_f64 v[22:23], v[48:49], 2.0, -v[6:7]
	v_add_f64 v[46:47], v[143:144], -v[252:253]
	v_fma_f64 v[254:255], v[16:17], v[236:237], -v[0:1]
	v_add_f64 v[0:1], v[20:21], -v[28:29]
	v_add_f64 v[28:29], v[54:55], -v[32:33]
	;; [unrolled: 1-line block ×5, first 2 shown]
	v_fma_f64 v[145:146], v[26:27], 2.0, -v[40:41]
	v_fma_f64 v[26:27], v[139:140], 2.0, -v[8:9]
	v_add_f64 v[40:41], v[4:5], -v[40:41]
	v_add_f64 v[44:45], v[134:135], -v[254:255]
	v_fma_f64 v[16:17], v[20:21], 2.0, -v[0:1]
	v_fma_f64 v[20:21], v[141:142], 2.0, -v[4:5]
	;; [unrolled: 1-line block ×8, first 2 shown]
	v_add_f64 v[28:29], v[2:3], v[28:29]
	v_add_f64 v[101:102], v[6:7], v[34:35]
	v_add_f64 v[42:43], v[12:13], -v[42:43]
	v_add_f64 v[46:47], v[14:15], -v[46:47]
	v_fma_f64 v[134:135], v[134:135], 2.0, -v[44:45]
	v_add_f64 v[44:45], v[10:11], v[44:45]
	v_add_f64 v[50:51], v[18:19], -v[56:57]
	v_add_f64 v[52:53], v[20:21], -v[141:142]
	;; [unrolled: 1-line block ×7, first 2 shown]
	v_fma_f64 v[12:13], v[12:13], 2.0, -v[42:43]
	v_fma_f64 v[14:15], v[14:15], 2.0, -v[46:47]
	v_add_f64 v[56:57], v[30:31], -v[134:135]
	v_fma_f64 v[34:35], v[44:45], s[4:5], v[38:39]
	v_add_f64 v[134:135], v[50:51], v[52:53]
	v_fma_f64 v[26:27], v[26:27], 2.0, -v[254:255]
	v_add_f64 v[132:133], v[48:49], -v[54:55]
	v_fma_f64 v[24:25], v[24:25], 2.0, -v[252:253]
	v_add_f64 v[141:142], v[252:253], -v[58:59]
	v_add_f64 v[143:144], v[254:255], v[56:57]
	v_fma_f64 v[34:35], v[46:47], s[4:5], v[34:35]
	v_fma_f64 v[158:159], v[50:51], 2.0, -v[134:135]
	v_fma_f64 v[50:51], v[18:19], 2.0, -v[50:51]
	;; [unrolled: 1-line block ×5, first 2 shown]
	v_fma_f64 v[137:138], v[141:142], s[4:5], v[132:133]
	v_fma_f64 v[145:146], v[252:253], 2.0, -v[141:142]
	v_fma_f64 v[16:17], v[20:21], 2.0, -v[52:53]
	;; [unrolled: 1-line block ×4, first 2 shown]
	v_fma_f64 v[139:140], v[143:144], s[4:5], v[134:135]
	v_add_f64 v[36:37], v[50:51], -v[18:19]
	v_fma_f64 v[137:138], v[143:144], s[2:3], v[137:138]
	v_add_f64 v[30:31], v[48:49], -v[16:17]
	v_add_f64 v[52:53], v[26:27], -v[20:21]
	;; [unrolled: 1-line block ×3, first 2 shown]
	v_fma_f64 v[139:140], v[141:142], s[4:5], v[139:140]
	v_fma_f64 v[141:142], v[254:255], 2.0, -v[143:144]
	v_fma_f64 v[143:144], v[145:146], s[2:3], v[156:157]
	v_add_f64 v[16:17], v[30:31], -v[52:53]
	v_add_f64 v[18:19], v[36:37], v[54:55]
	v_fma_f64 v[248:249], v[141:142], s[2:3], v[158:159]
	v_fma_f64 v[141:142], v[141:142], s[2:3], v[143:144]
	v_fma_f64 v[20:21], v[30:31], 2.0, -v[16:17]
	v_fma_f64 v[22:23], v[36:37], 2.0, -v[18:19]
	ds_write_b128 v100, v[16:19] offset:20736
	v_fma_f64 v[18:19], v[2:3], 2.0, -v[28:29]
	v_fma_f64 v[2:3], v[6:7], 2.0, -v[101:102]
	;; [unrolled: 1-line block ×3, first 2 shown]
	v_fma_f64 v[143:144], v[145:146], s[4:5], v[248:249]
	v_add_f64 v[145:146], v[0:1], -v[32:33]
	v_fma_f64 v[10:11], v[2:3], s[2:3], v[18:19]
	v_fma_f64 v[32:33], v[40:41], s[4:5], v[145:146]
	v_fma_f64 v[16:17], v[0:1], 2.0, -v[145:146]
	v_fma_f64 v[0:1], v[4:5], 2.0, -v[40:41]
	;; [unrolled: 1-line block ×3, first 2 shown]
	v_fma_f64 v[8:9], v[14:15], s[2:3], v[12:13]
	v_fma_f64 v[64:65], v[101:102], s[2:3], v[32:33]
	;; [unrolled: 1-line block ×5, first 2 shown]
	v_fma_f64 v[70:71], v[145:146], 2.0, -v[64:65]
	v_fma_f64 v[66:67], v[40:41], s[4:5], v[32:33]
	v_fma_f64 v[32:33], v[46:47], s[4:5], v[42:43]
	;; [unrolled: 1-line block ×3, first 2 shown]
	v_fma_f64 v[14:15], v[134:135], 2.0, -v[139:140]
	v_fma_f64 v[250:251], v[34:35], s[20:21], v[66:67]
	v_fma_f64 v[32:33], v[44:45], s[2:3], v[32:33]
	v_fma_f64 v[72:73], v[28:29], 2.0, -v[66:67]
	v_fma_f64 v[28:29], v[48:49], 2.0, -v[30:31]
	;; [unrolled: 1-line block ×4, first 2 shown]
	v_lshlrev_b32_e32 v48, 4, v147
	v_fma_f64 v[68:69], v[42:43], 2.0, -v[32:33]
	v_fma_f64 v[42:43], v[0:1], s[4:5], v[10:11]
	v_fma_f64 v[0:1], v[0:1], s[2:3], v[16:17]
	v_fma_f64 v[10:11], v[12:13], 2.0, -v[8:9]
	v_fma_f64 v[248:249], v[32:33], s[20:21], v[64:65]
	v_fma_f64 v[250:251], v[32:33], s[18:19], v[250:251]
	v_fma_f64 v[32:33], v[38:39], 2.0, -v[34:35]
	v_fma_f64 v[46:47], v[18:19], 2.0, -v[42:43]
	v_fma_f64 v[40:41], v[2:3], s[2:3], v[0:1]
	v_fma_f64 v[0:1], v[6:7], s[18:19], v[42:43]
	;; [unrolled: 1-line block ×5, first 2 shown]
	v_fma_f64 v[18:19], v[66:67], 2.0, -v[250:251]
	s_add_u32 s2, s16, 0x6c00
	s_addc_u32 s3, s17, 0
	v_fma_f64 v[12:13], v[8:9], s[18:19], v[40:41]
	v_fma_f64 v[44:45], v[16:17], 2.0, -v[40:41]
	v_fma_f64 v[2:3], v[8:9], s[20:21], v[0:1]
	v_fma_f64 v[8:9], v[4:5], s[12:13], v[46:47]
	;; [unrolled: 1-line block ×4, first 2 shown]
	v_fma_f64 v[16:17], v[64:65], 2.0, -v[248:249]
	v_fma_f64 v[0:1], v[6:7], s[12:13], v[12:13]
	v_fma_f64 v[6:7], v[10:11], s[12:13], v[44:45]
	v_fma_f64 v[12:13], v[132:133], 2.0, -v[137:138]
	v_fma_f64 v[42:43], v[42:43], 2.0, -v[2:3]
	;; [unrolled: 1-line block ×5, first 2 shown]
	v_fma_f64 v[4:5], v[4:5], s[14:15], v[6:7]
	v_fma_f64 v[6:7], v[10:11], s[18:19], v[8:9]
	v_fma_f64 v[8:9], v[24:25], 2.0, -v[54:55]
	v_fma_f64 v[10:11], v[26:27], 2.0, -v[52:53]
	;; [unrolled: 1-line block ×4, first 2 shown]
	v_add_f64 v[8:9], v[28:29], -v[8:9]
	v_add_f64 v[10:11], v[30:31], -v[10:11]
	v_fma_f64 v[24:25], v[28:29], 2.0, -v[8:9]
	v_fma_f64 v[26:27], v[30:31], 2.0, -v[10:11]
	v_fma_f64 v[28:29], v[156:157], 2.0, -v[141:142]
	v_fma_f64 v[30:31], v[158:159], 2.0, -v[143:144]
	ds_write_b128 v100, v[137:140] offset:24192
	ds_write_b128 v100, v[248:251] offset:25920
	;; [unrolled: 1-line block ×9, first 2 shown]
	ds_write_b128 v100, v[24:27]
	ds_write_b128 v100, v[28:31] offset:3456
	ds_write_b128 v100, v[36:39] offset:5184
	;; [unrolled: 1-line block ×5, first 2 shown]
	s_waitcnt lgkmcnt(0)
	s_waitcnt_vscnt null, 0x0
	s_barrier
	buffer_gl0_inv
	buffer_load_dword v12, off, s[24:27], 0 offset:272 ; 4-byte Folded Reload
	global_load_dwordx4 v[4:7], v48, s[2:3]
	v_add_co_u32 v2, s1, s2, v48
	v_add_co_ci_u32_e64 v3, null, s3, 0, s1
	v_add_co_u32 v0, s1, 0x2000, v2
	v_add_co_ci_u32_e64 v1, s1, 0, v3, s1
	v_add_co_u32 v20, s1, 0x2800, v2
	v_add_co_ci_u32_e64 v21, s1, 0, v3, s1
	global_load_dwordx4 v[8:11], v[0:1], off offset:1024
	v_add_co_u32 v24, s1, 0x4800, v2
	v_add_co_ci_u32_e64 v25, s1, 0, v3, s1
	v_add_co_u32 v28, s1, 0x800, v2
	v_add_co_ci_u32_e64 v29, s1, 0, v3, s1
	v_add_co_u32 v32, s1, 0x3000, v2
	v_add_co_ci_u32_e64 v33, s1, 0, v3, s1
	s_waitcnt vmcnt(2)
	s_clause 0x5
	global_load_dwordx4 v[12:15], v12, s[2:3]
	global_load_dwordx4 v[16:19], v48, s[2:3] offset:1728
	global_load_dwordx4 v[20:23], v[20:21], off offset:704
	global_load_dwordx4 v[24:27], v[24:25], off offset:1728
	;; [unrolled: 1-line block ×4, first 2 shown]
	ds_read_b128 v[36:39], v100
	ds_read_b128 v[40:43], v100 offset:1728
	ds_read_b128 v[44:47], v100 offset:9216
	;; [unrolled: 1-line block ×3, first 2 shown]
	s_waitcnt vmcnt(7) lgkmcnt(3)
	v_mul_f64 v[52:53], v[38:39], v[6:7]
	v_mul_f64 v[6:7], v[36:37], v[6:7]
	v_fma_f64 v[36:37], v[36:37], v[4:5], -v[52:53]
	s_waitcnt vmcnt(6) lgkmcnt(1)
	v_mul_f64 v[52:53], v[46:47], v[10:11]
	v_mul_f64 v[10:11], v[44:45], v[10:11]
	v_fma_f64 v[38:39], v[38:39], v[4:5], v[6:7]
	ds_read_b128 v[4:7], v100 offset:18432
	v_fma_f64 v[44:45], v[44:45], v[8:9], -v[52:53]
	v_fma_f64 v[46:47], v[46:47], v[8:9], v[10:11]
	ds_read_b128 v[8:11], v100 offset:20160
	s_waitcnt vmcnt(5) lgkmcnt(1)
	v_mul_f64 v[52:53], v[6:7], v[14:15]
	v_mul_f64 v[14:15], v[4:5], v[14:15]
	v_fma_f64 v[4:5], v[4:5], v[12:13], -v[52:53]
	s_waitcnt vmcnt(4)
	v_mul_f64 v[52:53], v[42:43], v[18:19]
	v_mul_f64 v[18:19], v[40:41], v[18:19]
	v_fma_f64 v[6:7], v[6:7], v[12:13], v[14:15]
	ds_read_b128 v[12:15], v100 offset:10944
	v_fma_f64 v[40:41], v[40:41], v[16:17], -v[52:53]
	v_fma_f64 v[42:43], v[42:43], v[16:17], v[18:19]
	ds_read_b128 v[16:19], v100 offset:12672
	s_waitcnt vmcnt(3) lgkmcnt(1)
	v_mul_f64 v[52:53], v[14:15], v[22:23]
	v_mul_f64 v[22:23], v[12:13], v[22:23]
	v_fma_f64 v[12:13], v[12:13], v[20:21], -v[52:53]
	s_waitcnt vmcnt(2)
	v_mul_f64 v[52:53], v[10:11], v[26:27]
	v_mul_f64 v[26:27], v[8:9], v[26:27]
	v_fma_f64 v[14:15], v[14:15], v[20:21], v[22:23]
	ds_read_b128 v[20:23], v100 offset:3456
	v_fma_f64 v[8:9], v[8:9], v[24:25], -v[52:53]
	v_fma_f64 v[10:11], v[10:11], v[24:25], v[26:27]
	ds_read_b128 v[24:27], v100 offset:5184
	s_waitcnt vmcnt(1) lgkmcnt(1)
	v_mul_f64 v[52:53], v[22:23], v[30:31]
	v_mul_f64 v[30:31], v[20:21], v[30:31]
	v_fma_f64 v[20:21], v[20:21], v[28:29], -v[52:53]
	v_fma_f64 v[22:23], v[22:23], v[28:29], v[30:31]
	s_waitcnt vmcnt(0)
	v_mul_f64 v[52:53], v[18:19], v[34:35]
	v_mul_f64 v[34:35], v[16:17], v[34:35]
	v_add_co_u32 v28, s1, 0x5000, v2
	v_add_co_ci_u32_e64 v29, s1, 0, v3, s1
	global_load_dwordx4 v[28:31], v[28:29], off offset:1408
	v_fma_f64 v[16:17], v[16:17], v[32:33], -v[52:53]
	v_fma_f64 v[18:19], v[18:19], v[32:33], v[34:35]
	v_add_co_u32 v32, s1, 0x1000, v2
	v_add_co_ci_u32_e64 v33, s1, 0, v3, s1
	global_load_dwordx4 v[32:35], v[32:33], off offset:1088
	ds_read_b128 v[52:55], v100 offset:21888
	ds_read_b128 v[56:59], v100 offset:23616
	s_waitcnt vmcnt(1) lgkmcnt(1)
	v_mul_f64 v[64:65], v[54:55], v[30:31]
	v_mul_f64 v[30:31], v[52:53], v[30:31]
	v_fma_f64 v[52:53], v[52:53], v[28:29], -v[64:65]
	v_fma_f64 v[54:55], v[54:55], v[28:29], v[30:31]
	s_waitcnt vmcnt(0)
	v_mul_f64 v[28:29], v[26:27], v[34:35]
	v_mul_f64 v[30:31], v[24:25], v[34:35]
	v_fma_f64 v[24:25], v[24:25], v[32:33], -v[28:29]
	v_fma_f64 v[26:27], v[26:27], v[32:33], v[30:31]
	v_add_co_u32 v32, s1, 0x3800, v2
	v_add_co_ci_u32_e64 v33, s1, 0, v3, s1
	s_clause 0x1
	global_load_dwordx4 v[28:31], v[32:33], off offset:64
	global_load_dwordx4 v[32:35], v[32:33], off offset:1792
	ds_read_b128 v[132:135], v100 offset:14400
	ds_read_b128 v[137:140], v100 offset:16128
	s_waitcnt vmcnt(1) lgkmcnt(1)
	v_mul_f64 v[64:65], v[134:135], v[30:31]
	v_mul_f64 v[30:31], v[132:133], v[30:31]
	v_fma_f64 v[132:133], v[132:133], v[28:29], -v[64:65]
	v_fma_f64 v[134:135], v[134:135], v[28:29], v[30:31]
	v_add_co_u32 v28, s1, 0x5800, v2
	v_add_co_ci_u32_e64 v29, s1, 0, v3, s1
	v_add_co_u32 v64, s1, 0x1800, v2
	v_add_co_ci_u32_e64 v65, s1, 0, v3, s1
	s_clause 0x1
	global_load_dwordx4 v[28:31], v[28:29], off offset:1088
	global_load_dwordx4 v[141:144], v[64:65], off offset:768
	s_waitcnt vmcnt(1)
	v_mul_f64 v[64:65], v[58:59], v[30:31]
	v_mul_f64 v[30:31], v[56:57], v[30:31]
	v_fma_f64 v[56:57], v[56:57], v[28:29], -v[64:65]
	v_fma_f64 v[58:59], v[58:59], v[28:29], v[30:31]
	s_waitcnt vmcnt(0)
	v_mul_f64 v[28:29], v[50:51], v[143:144]
	v_mul_f64 v[30:31], v[48:49], v[143:144]
	v_fma_f64 v[28:29], v[48:49], v[141:142], -v[28:29]
	s_waitcnt lgkmcnt(0)
	v_mul_f64 v[48:49], v[139:140], v[34:35]
	v_mul_f64 v[34:35], v[137:138], v[34:35]
	v_fma_f64 v[30:31], v[50:51], v[141:142], v[30:31]
	v_fma_f64 v[48:49], v[137:138], v[32:33], -v[48:49]
	v_fma_f64 v[50:51], v[139:140], v[32:33], v[34:35]
	v_add_co_u32 v32, s1, 0x6000, v2
	v_add_co_ci_u32_e64 v33, s1, 0, v3, s1
	ds_read_b128 v[137:140], v100 offset:25344
	global_load_dwordx4 v[32:35], v[32:33], off offset:768
	s_waitcnt vmcnt(0) lgkmcnt(0)
	v_mul_f64 v[64:65], v[139:140], v[34:35]
	v_mul_f64 v[34:35], v[137:138], v[34:35]
	v_fma_f64 v[137:138], v[137:138], v[32:33], -v[64:65]
	v_fma_f64 v[139:140], v[139:140], v[32:33], v[34:35]
	ds_write_b128 v100, v[36:39]
	ds_write_b128 v100, v[44:47] offset:9216
	ds_write_b128 v100, v[4:7] offset:18432
	;; [unrolled: 1-line block ×14, first 2 shown]
	s_and_saveexec_b32 s2, vcc_lo
	s_cbranch_execz .LBB0_17
; %bb.16:
	v_add_co_u32 v4, s1, 0x4000, v2
	v_add_co_ci_u32_e64 v5, s1, 0, v3, s1
	v_add_co_u32 v8, s1, 0x6800, v2
	v_add_co_ci_u32_e64 v9, s1, 0, v3, s1
	s_clause 0x2
	global_load_dwordx4 v[0:3], v[0:1], off offset:448
	global_load_dwordx4 v[4:7], v[4:5], off offset:1472
	;; [unrolled: 1-line block ×3, first 2 shown]
	ds_read_b128 v[12:15], v100 offset:8640
	ds_read_b128 v[16:19], v100 offset:17856
	;; [unrolled: 1-line block ×3, first 2 shown]
	s_waitcnt vmcnt(2) lgkmcnt(2)
	v_mul_f64 v[24:25], v[14:15], v[2:3]
	v_mul_f64 v[2:3], v[12:13], v[2:3]
	s_waitcnt vmcnt(1) lgkmcnt(1)
	v_mul_f64 v[26:27], v[18:19], v[6:7]
	v_mul_f64 v[6:7], v[16:17], v[6:7]
	;; [unrolled: 3-line block ×3, first 2 shown]
	v_fma_f64 v[10:11], v[12:13], v[0:1], -v[24:25]
	v_fma_f64 v[12:13], v[14:15], v[0:1], v[2:3]
	v_fma_f64 v[0:1], v[16:17], v[4:5], -v[26:27]
	v_fma_f64 v[2:3], v[18:19], v[4:5], v[6:7]
	v_fma_f64 v[4:5], v[20:21], v[8:9], -v[28:29]
	v_fma_f64 v[6:7], v[22:23], v[8:9], v[30:31]
	ds_write_b128 v100, v[10:13] offset:8640
	ds_write_b128 v100, v[0:3] offset:17856
	ds_write_b128 v100, v[4:7] offset:27072
.LBB0_17:
	s_or_b32 exec_lo, exec_lo, s2
	s_waitcnt lgkmcnt(0)
	s_barrier
	buffer_gl0_inv
	ds_read_b128 v[44:47], v100
	ds_read_b128 v[40:43], v100 offset:1728
	ds_read_b128 v[32:35], v100 offset:18432
	;; [unrolled: 1-line block ×14, first 2 shown]
	s_and_saveexec_b32 s1, vcc_lo
	s_cbranch_execz .LBB0_19
; %bb.18:
	ds_read_b128 v[248:251], v100 offset:8640
	ds_read_b128 v[244:247], v100 offset:17856
	ds_read_b128 v[240:243], v100 offset:27072
.LBB0_19:
	s_or_b32 exec_lo, exec_lo, s1
	s_waitcnt lgkmcnt(4)
	v_add_f64 v[56:57], v[52:53], v[32:33]
	v_add_f64 v[58:59], v[54:55], v[34:35]
	;; [unrolled: 1-line block ×5, first 2 shown]
	v_add_f64 v[70:71], v[54:55], -v[34:35]
	v_add_f64 v[54:55], v[46:47], v[54:55]
	v_add_f64 v[52:53], v[52:53], -v[32:33]
	v_add_f64 v[74:75], v[42:43], v[50:51]
	v_add_f64 v[101:102], v[24:25], v[20:21]
	v_add_f64 v[50:51], v[50:51], -v[38:39]
	v_add_f64 v[137:138], v[22:23], v[10:11]
	s_mov_b32 s2, 0xe8584caa
	s_mov_b32 s3, 0xbfebb67a
	;; [unrolled: 1-line block ×4, first 2 shown]
	v_add_f64 v[72:73], v[40:41], v[48:49]
	v_add_f64 v[132:133], v[20:21], v[8:9]
	v_add_f64 v[134:135], v[26:27], v[22:23]
	s_waitcnt lgkmcnt(2)
	v_add_f64 v[141:142], v[30:31], v[6:7]
	v_add_f64 v[139:140], v[28:29], v[4:5]
	s_waitcnt lgkmcnt(0)
	v_fma_f64 v[44:45], v[56:57], -0.5, v[44:45]
	v_fma_f64 v[46:47], v[58:59], -0.5, v[46:47]
	v_add_f64 v[56:57], v[48:49], -v[36:37]
	v_fma_f64 v[58:59], v[64:65], -0.5, v[40:41]
	v_fma_f64 v[66:67], v[66:67], -0.5, v[42:43]
	v_add_f64 v[64:65], v[22:23], -v[10:11]
	v_add_f64 v[34:35], v[54:55], v[34:35]
	v_add_f64 v[32:33], v[68:69], v[32:33]
	s_barrier
	v_add_f64 v[22:23], v[101:102], v[8:9]
	v_add_f64 v[8:9], v[20:21], -v[8:9]
	v_add_f64 v[20:21], v[16:17], v[28:29]
	buffer_gl0_inv
	v_add_f64 v[38:39], v[74:75], v[38:39]
	v_add_f64 v[143:144], v[252:253], v[0:1]
	;; [unrolled: 1-line block ×4, first 2 shown]
	v_fma_f64 v[24:25], v[132:133], -0.5, v[24:25]
	v_add_f64 v[156:157], v[244:245], v[240:241]
	v_fma_f64 v[68:69], v[141:142], -0.5, v[18:19]
	v_add_f64 v[158:159], v[246:247], v[242:243]
	v_add_f64 v[72:73], v[12:13], v[252:253]
	v_fma_f64 v[40:41], v[70:71], s[2:3], v[44:45]
	v_fma_f64 v[42:43], v[52:53], s[4:5], v[46:47]
	;; [unrolled: 1-line block ×7, first 2 shown]
	v_fma_f64 v[56:57], v[137:138], -0.5, v[26:27]
	v_fma_f64 v[44:45], v[70:71], s[4:5], v[44:45]
	v_add_f64 v[66:67], v[30:31], -v[6:7]
	v_add_f64 v[30:31], v[18:19], v[30:31]
	v_add_f64 v[70:71], v[28:29], -v[4:5]
	v_fma_f64 v[58:59], v[139:140], -0.5, v[16:17]
	v_add_f64 v[74:75], v[254:255], -v[2:3]
	v_fma_f64 v[12:13], v[143:144], -0.5, v[12:13]
	v_add_f64 v[101:102], v[14:15], v[254:255]
	v_fma_f64 v[14:15], v[145:146], -0.5, v[14:15]
	v_fma_f64 v[16:17], v[64:65], s[2:3], v[24:25]
	v_fma_f64 v[26:27], v[64:65], s[4:5], v[24:25]
	v_add_f64 v[24:25], v[134:135], v[10:11]
	v_add_f64 v[141:142], v[252:253], -v[0:1]
	v_add_f64 v[143:144], v[248:249], v[244:245]
	v_fma_f64 v[145:146], v[156:157], -0.5, v[248:249]
	v_add_f64 v[156:157], v[246:247], -v[242:243]
	v_add_f64 v[248:249], v[250:251], v[246:247]
	v_fma_f64 v[158:159], v[158:159], -0.5, v[250:251]
	v_add_f64 v[250:251], v[244:245], -v[240:241]
	v_add_f64 v[244:245], v[72:73], v[0:1]
	v_fma_f64 v[18:19], v[8:9], s[4:5], v[56:57]
	v_fma_f64 v[28:29], v[8:9], s[2:3], v[56:57]
	v_add_f64 v[56:57], v[20:21], v[4:5]
	buffer_load_dword v20, off, s[24:27], 0 offset:312 ; 4-byte Folded Reload
	v_fma_f64 v[134:135], v[70:71], s[4:5], v[68:69]
	v_fma_f64 v[132:133], v[66:67], s[2:3], v[58:59]
	;; [unrolled: 1-line block ×3, first 2 shown]
	v_add_f64 v[58:59], v[30:31], v[6:7]
	v_fma_f64 v[139:140], v[70:71], s[2:3], v[68:69]
	v_fma_f64 v[252:253], v[74:75], s[2:3], v[12:13]
	;; [unrolled: 1-line block ×3, first 2 shown]
	v_add_f64 v[246:247], v[101:102], v[2:3]
	s_waitcnt vmcnt(0)
	ds_write_b128 v20, v[32:35]
	ds_write_b128 v20, v[40:43] offset:16
	ds_write_b128 v20, v[44:47] offset:32
	buffer_load_dword v20, off, s[24:27], 0 offset:308 ; 4-byte Folded Reload
	v_fma_f64 v[254:255], v[141:142], s[4:5], v[14:15]
	v_fma_f64 v[2:3], v[141:142], s[2:3], v[14:15]
	v_add_f64 v[4:5], v[143:144], v[240:241]
	v_fma_f64 v[8:9], v[156:157], s[2:3], v[145:146]
	v_fma_f64 v[12:13], v[156:157], s[4:5], v[145:146]
	v_add_f64 v[6:7], v[248:249], v[242:243]
	v_fma_f64 v[10:11], v[250:251], s[4:5], v[158:159]
	v_fma_f64 v[14:15], v[250:251], s[2:3], v[158:159]
	s_waitcnt vmcnt(0)
	ds_write_b128 v20, v[36:39]
	ds_write_b128 v20, v[48:51] offset:16
	ds_write_b128 v20, v[52:55] offset:32
	buffer_load_dword v20, off, s[24:27], 0 offset:336 ; 4-byte Folded Reload
	s_waitcnt vmcnt(0)
	ds_write_b128 v20, v[22:25]
	ds_write_b128 v20, v[16:19] offset:16
	ds_write_b128 v20, v[26:29] offset:32
	buffer_load_dword v16, off, s[24:27], 0 offset:356 ; 4-byte Folded Reload
	;; [unrolled: 5-line block ×3, first 2 shown]
	s_waitcnt vmcnt(0)
	ds_write_b128 v16, v[244:247]
	ds_write_b128 v16, v[252:255] offset:16
	ds_write_b128 v16, v[0:3] offset:32
	s_and_saveexec_b32 s1, vcc_lo
	s_cbranch_execz .LBB0_21
; %bb.20:
	buffer_load_dword v16, off, s[24:27], 0 offset:360 ; 4-byte Folded Reload
	s_waitcnt vmcnt(0)
	v_lshlrev_b32_e32 v16, 4, v16
	ds_write_b128 v16, v[4:7]
	ds_write_b128 v16, v[8:11] offset:16
	ds_write_b128 v16, v[12:15] offset:32
.LBB0_21:
	s_or_b32 exec_lo, exec_lo, s1
	s_waitcnt lgkmcnt(0)
	s_barrier
	buffer_gl0_inv
	ds_read_b128 v[248:251], v100
	ds_read_b128 v[240:243], v100 offset:1728
	ds_read_b128 v[44:47], v100 offset:4608
	;; [unrolled: 1-line block ×11, first 2 shown]
	s_and_saveexec_b32 s1, s0
	s_cbranch_execz .LBB0_23
; %bb.22:
	ds_read_b128 v[244:247], v100 offset:3456
	ds_read_b128 v[252:255], v100 offset:8064
	;; [unrolled: 1-line block ×6, first 2 shown]
.LBB0_23:
	s_or_b32 exec_lo, exec_lo, s1
	s_clause 0x3
	buffer_load_dword v64, off, s[24:27], 0 offset:292
	buffer_load_dword v65, off, s[24:27], 0 offset:296
	;; [unrolled: 1-line block ×4, first 2 shown]
	s_waitcnt lgkmcnt(5)
	v_mul_f64 v[56:57], v[94:95], v[48:49]
	s_waitcnt lgkmcnt(3)
	v_mul_f64 v[58:59], v[78:79], v[36:37]
	;; [unrolled: 2-line block ×4, first 2 shown]
	v_mul_f64 v[70:71], v[86:87], v[20:21]
	s_mov_b32 s4, 0xe8584caa
	s_mov_b32 s5, 0xbfebb67a
	s_mov_b32 s3, 0x3febb67a
	s_mov_b32 s2, s4
	v_fma_f64 v[56:57], v[92:93], v[50:51], -v[56:57]
	v_mul_f64 v[50:51], v[94:95], v[50:51]
	v_fma_f64 v[20:21], v[84:85], v[20:21], v[68:69]
	v_fma_f64 v[22:23], v[84:85], v[22:23], -v[70:71]
	v_mul_f64 v[70:71], v[110:111], v[6:7]
	v_fma_f64 v[48:49], v[92:93], v[48:49], v[50:51]
	v_mul_f64 v[50:51], v[98:99], v[52:53]
	v_fma_f64 v[50:51], v[96:97], v[54:55], -v[50:51]
	v_mul_f64 v[54:55], v[98:99], v[54:55]
	v_add_f64 v[68:69], v[56:57], v[50:51]
	v_fma_f64 v[52:53], v[96:97], v[52:53], v[54:55]
	s_waitcnt vmcnt(0)
	v_mul_f64 v[54:55], v[66:67], v[46:47]
	v_fma_f64 v[54:55], v[64:65], v[44:45], v[54:55]
	v_mul_f64 v[44:45], v[66:67], v[44:45]
	v_fma_f64 v[44:45], v[64:65], v[46:47], -v[44:45]
	s_clause 0x3
	buffer_load_dword v64, off, s[24:27], 0 offset:276
	buffer_load_dword v65, off, s[24:27], 0 offset:280
	;; [unrolled: 1-line block ×4, first 2 shown]
	v_fma_f64 v[68:69], v[68:69], -0.5, v[44:45]
	v_add_f64 v[44:45], v[44:45], v[56:57]
	s_waitcnt vmcnt(0)
	v_mul_f64 v[46:47], v[66:67], v[42:43]
	v_fma_f64 v[46:47], v[64:65], v[40:41], v[46:47]
	v_mul_f64 v[40:41], v[66:67], v[40:41]
	v_fma_f64 v[40:41], v[64:65], v[42:43], -v[40:41]
	v_mul_f64 v[42:43], v[78:79], v[38:39]
	v_mul_f64 v[64:65], v[82:83], v[34:35]
	v_fma_f64 v[38:39], v[76:77], v[38:39], -v[58:59]
	v_fma_f64 v[36:37], v[76:77], v[36:37], v[42:43]
	v_mul_f64 v[42:43], v[82:83], v[32:33]
	s_clause 0x3
	buffer_load_dword v74, off, s[24:27], 0 offset:340
	buffer_load_dword v75, off, s[24:27], 0 offset:344
	;; [unrolled: 1-line block ×4, first 2 shown]
	v_fma_f64 v[32:33], v[80:81], v[32:33], v[64:65]
	v_mul_f64 v[82:83], v[118:119], v[14:15]
	v_fma_f64 v[34:35], v[80:81], v[34:35], -v[42:43]
	s_clause 0x3
	buffer_load_dword v78, off, s[24:27], 0 offset:320
	buffer_load_dword v79, off, s[24:27], 0 offset:324
	;; [unrolled: 1-line block ×4, first 2 shown]
	s_waitcnt vmcnt(0)
	s_barrier
	buffer_gl0_inv
	v_mul_f64 v[58:59], v[76:77], v[30:31]
	v_mul_f64 v[66:67], v[76:77], v[28:29]
	;; [unrolled: 1-line block ×6, first 2 shown]
	v_fma_f64 v[28:29], v[74:75], v[28:29], v[58:59]
	v_fma_f64 v[30:31], v[74:75], v[30:31], -v[66:67]
	v_mul_f64 v[58:59], v[90:91], v[18:19]
	v_mul_f64 v[66:67], v[106:107], v[254:255]
	;; [unrolled: 1-line block ×3, first 2 shown]
	v_fma_f64 v[18:19], v[88:89], v[18:19], -v[72:73]
	v_mul_f64 v[80:81], v[114:115], v[8:9]
	v_fma_f64 v[0:1], v[60:61], v[0:1], v[76:77]
	v_fma_f64 v[2:3], v[60:61], v[2:3], -v[62:63]
	v_add_f64 v[72:73], v[250:251], v[40:41]
	v_add_f64 v[76:77], v[56:57], -v[50:51]
	v_fma_f64 v[24:25], v[78:79], v[24:25], v[42:43]
	v_fma_f64 v[26:27], v[78:79], v[26:27], -v[64:65]
	v_mul_f64 v[42:43], v[110:111], v[4:5]
	v_mul_f64 v[64:65], v[118:119], v[12:13]
	v_mul_f64 v[78:79], v[114:115], v[10:11]
	v_fma_f64 v[58:59], v[88:89], v[16:17], v[58:59]
	v_fma_f64 v[16:17], v[104:105], v[252:253], v[66:67]
	v_fma_f64 v[66:67], v[104:105], v[254:255], -v[74:75]
	v_fma_f64 v[4:5], v[108:109], v[4:5], v[70:71]
	v_fma_f64 v[62:63], v[112:113], v[10:11], -v[80:81]
	v_fma_f64 v[70:71], v[116:117], v[12:13], v[82:83]
	v_add_f64 v[10:11], v[46:47], v[36:37]
	v_add_f64 v[12:13], v[40:41], -v[38:39]
	v_add_f64 v[40:41], v[40:41], v[38:39]
	v_add_f64 v[56:57], v[240:241], v[28:29]
	v_add_f64 v[80:81], v[30:31], -v[22:23]
	v_add_f64 v[96:97], v[2:3], v[246:247]
	v_add_f64 v[90:91], v[0:1], v[244:245]
	;; [unrolled: 1-line block ×3, first 2 shown]
	v_fma_f64 v[6:7], v[108:109], v[6:7], -v[42:43]
	v_fma_f64 v[42:43], v[116:117], v[14:15], -v[64:65]
	v_add_f64 v[14:15], v[48:49], v[52:53]
	v_add_f64 v[64:65], v[48:49], -v[52:53]
	v_fma_f64 v[60:61], v[112:113], v[8:9], v[78:79]
	v_add_f64 v[8:9], v[248:249], v[46:47]
	v_add_f64 v[86:87], v[24:25], v[58:59]
	v_add_f64 v[88:89], v[26:27], -v[18:19]
	v_add_f64 v[26:27], v[34:35], v[26:27]
	v_add_f64 v[46:47], v[46:47], -v[36:37]
	v_add_f64 v[48:49], v[54:55], v[48:49]
	v_add_f64 v[78:79], v[28:29], v[20:21]
	v_fma_f64 v[10:11], v[10:11], -0.5, v[248:249]
	v_add_f64 v[98:99], v[4:5], -v[70:71]
	v_fma_f64 v[40:41], v[40:41], -0.5, v[250:251]
	v_add_f64 v[108:109], v[4:5], v[16:17]
	v_add_f64 v[28:29], v[28:29], -v[20:21]
	v_add_f64 v[94:95], v[2:3], -v[62:63]
	v_add_f64 v[2:3], v[62:63], v[2:3]
	v_add_f64 v[56:57], v[56:57], v[20:21]
	v_fma_f64 v[34:35], v[74:75], -0.5, v[34:35]
	v_add_f64 v[74:75], v[4:5], v[70:71]
	v_add_f64 v[82:83], v[6:7], v[42:43]
	v_fma_f64 v[14:15], v[14:15], -0.5, v[54:55]
	v_fma_f64 v[84:85], v[64:65], s[2:3], v[68:69]
	v_fma_f64 v[64:65], v[64:65], s[4:5], v[68:69]
	v_add_f64 v[68:69], v[32:33], v[24:25]
	v_add_f64 v[24:25], v[24:25], -v[58:59]
	v_add_f64 v[54:55], v[242:243], v[30:31]
	v_add_f64 v[30:31], v[30:31], v[22:23]
	;; [unrolled: 1-line block ×6, first 2 shown]
	v_fma_f64 v[32:33], v[86:87], -0.5, v[32:33]
	v_add_f64 v[8:9], v[48:49], v[52:53]
	v_add_f64 v[44:45], v[6:7], -v[42:43]
	v_fma_f64 v[48:49], v[78:79], -0.5, v[240:241]
	v_fma_f64 v[72:73], v[46:47], s[2:3], v[40:41]
	v_fma_f64 v[40:41], v[46:47], s[4:5], v[40:41]
	v_add_f64 v[106:107], v[0:1], -v[60:61]
	v_fma_f64 v[52:53], v[12:13], s[2:3], v[10:11]
	v_add_f64 v[6:7], v[6:7], v[66:67]
	v_fma_f64 v[16:17], v[74:75], -0.5, v[16:17]
	v_fma_f64 v[82:83], v[82:83], -0.5, v[66:67]
	v_fma_f64 v[101:102], v[76:77], s[4:5], v[14:15]
	v_fma_f64 v[14:15], v[76:77], s[2:3], v[14:15]
	v_mul_f64 v[76:77], v[84:85], s[4:5]
	v_mul_f64 v[104:105], v[64:65], s[4:5]
	v_fma_f64 v[50:51], v[24:25], s[2:3], v[34:35]
	v_fma_f64 v[24:25], v[24:25], s[4:5], v[34:35]
	v_mul_f64 v[84:85], v[84:85], 0.5
	v_fma_f64 v[34:35], v[12:13], s[4:5], v[10:11]
	v_fma_f64 v[20:21], v[30:31], -0.5, v[242:243]
	v_fma_f64 v[30:31], v[92:93], -0.5, v[244:245]
	v_add_f64 v[58:59], v[68:69], v[58:59]
	v_fma_f64 v[86:87], v[88:89], s[4:5], v[32:33]
	v_fma_f64 v[32:33], v[88:89], s[2:3], v[32:33]
	v_add_f64 v[0:1], v[4:5], v[8:9]
	v_add_f64 v[4:5], v[4:5], -v[8:9]
	v_mul_f64 v[64:65], v[64:65], -0.5
	v_add_f64 v[54:55], v[54:55], v[22:23]
	v_fma_f64 v[46:47], v[98:99], s[2:3], v[82:83]
	v_fma_f64 v[74:75], v[98:99], s[4:5], v[82:83]
	;; [unrolled: 1-line block ×3, first 2 shown]
	v_fma_f64 v[76:77], v[101:102], 0.5, v[76:77]
	v_fma_f64 v[78:79], v[14:15], -0.5, v[104:105]
	v_mul_f64 v[88:89], v[50:51], s[4:5]
	v_mul_f64 v[92:93], v[24:25], s[4:5]
	v_fma_f64 v[82:83], v[101:102], s[2:3], v[84:85]
	v_fma_f64 v[84:85], v[2:3], -0.5, v[246:247]
	v_mul_f64 v[50:51], v[50:51], 0.5
	v_mul_f64 v[24:25], v[24:25], -0.5
	v_fma_f64 v[101:102], v[44:45], s[4:5], v[16:17]
	v_fma_f64 v[44:45], v[44:45], s[2:3], v[16:17]
	;; [unrolled: 1-line block ×3, first 2 shown]
	v_add_f64 v[2:3], v[36:37], v[38:39]
	v_add_f64 v[80:81], v[26:27], v[18:19]
	v_fma_f64 v[64:65], v[14:15], s[2:3], v[64:65]
	v_fma_f64 v[66:67], v[28:29], s[2:3], v[20:21]
	v_mul_f64 v[104:105], v[46:47], s[4:5]
	v_mul_f64 v[110:111], v[74:75], s[4:5]
	v_add_f64 v[8:9], v[34:35], v[76:77]
	v_add_f64 v[16:17], v[34:35], -v[76:77]
	v_mul_f64 v[34:35], v[46:47], 0.5
	v_mul_f64 v[46:47], v[74:75], -0.5
	v_fma_f64 v[76:77], v[32:33], -0.5, v[92:93]
	v_fma_f64 v[68:69], v[86:87], 0.5, v[88:89]
	v_fma_f64 v[50:51], v[86:87], s[2:3], v[50:51]
	v_fma_f64 v[86:87], v[32:33], s[2:3], v[24:25]
	v_add_f64 v[88:89], v[60:61], v[90:91]
	v_fma_f64 v[90:91], v[94:95], s[4:5], v[30:31]
	v_fma_f64 v[92:93], v[94:95], s[2:3], v[30:31]
	v_add_f64 v[94:95], v[62:63], v[96:97]
	;; [unrolled: 3-line block ×3, first 2 shown]
	v_add_f64 v[10:11], v[72:73], v[82:83]
	v_add_f64 v[12:13], v[52:53], v[78:79]
	;; [unrolled: 1-line block ×3, first 2 shown]
	v_add_f64 v[18:19], v[72:73], -v[82:83]
	v_fma_f64 v[74:75], v[28:29], s[4:5], v[20:21]
	v_fma_f64 v[108:109], v[44:45], -0.5, v[110:111]
	v_add_f64 v[110:111], v[42:43], v[6:7]
	v_add_f64 v[6:7], v[36:37], -v[38:39]
	v_add_f64 v[20:21], v[52:53], -v[78:79]
	;; [unrolled: 1-line block ×3, first 2 shown]
	v_fma_f64 v[112:113], v[44:45], s[2:3], v[46:47]
	v_add_f64 v[32:33], v[48:49], v[76:77]
	v_add_f64 v[44:45], v[48:49], -v[76:77]
	buffer_load_dword v48, off, s[24:27], 0 offset:364 ; 4-byte Folded Reload
	v_fma_f64 v[104:105], v[101:102], 0.5, v[104:105]
	v_fma_f64 v[101:102], v[101:102], s[2:3], v[34:35]
	v_add_f64 v[24:25], v[56:57], v[58:59]
	v_add_f64 v[28:29], v[98:99], v[68:69]
	;; [unrolled: 1-line block ×4, first 2 shown]
	v_add_f64 v[40:41], v[98:99], -v[68:69]
	v_add_f64 v[38:39], v[54:55], -v[80:81]
	v_add_f64 v[42:43], v[66:67], -v[50:51]
	v_add_f64 v[60:61], v[88:89], v[106:107]
	v_add_f64 v[76:77], v[88:89], -v[106:107]
	v_add_f64 v[36:37], v[56:57], -v[58:59]
	v_add_f64 v[34:35], v[74:75], v[86:87]
	v_add_f64 v[46:47], v[74:75], -v[86:87]
	v_add_f64 v[68:69], v[92:93], v[108:109]
	v_add_f64 v[62:63], v[94:95], v[110:111]
	v_add_f64 v[80:81], v[92:93], -v[108:109]
	v_add_f64 v[78:79], v[94:95], -v[110:111]
	v_add_f64 v[70:71], v[84:85], v[112:113]
	v_add_f64 v[82:83], v[84:85], -v[112:113]
	s_waitcnt vmcnt(0)
	ds_write_b128 v48, v[0:3]
	ds_write_b128 v48, v[8:11] offset:48
	ds_write_b128 v48, v[12:15] offset:96
	;; [unrolled: 1-line block ×5, first 2 shown]
	buffer_load_dword v0, off, s[24:27], 0 offset:368 ; 4-byte Folded Reload
	v_add_f64 v[64:65], v[90:91], v[104:105]
	v_add_f64 v[66:67], v[96:97], v[101:102]
	v_add_f64 v[72:73], v[90:91], -v[104:105]
	v_add_f64 v[74:75], v[96:97], -v[101:102]
	s_waitcnt vmcnt(0)
	ds_write_b128 v0, v[24:27]
	ds_write_b128 v0, v[28:31] offset:48
	ds_write_b128 v0, v[32:35] offset:96
	;; [unrolled: 1-line block ×5, first 2 shown]
	s_and_saveexec_b32 s1, s0
	s_cbranch_execz .LBB0_25
; %bb.24:
	buffer_load_dword v1, off, s[24:27], 0 offset:372 ; 4-byte Folded Reload
	v_mov_b32_e32 v0, 4
	s_waitcnt vmcnt(0)
	v_lshlrev_b32_sdwa v0, v0, v1 dst_sel:DWORD dst_unused:UNUSED_PAD src0_sel:DWORD src1_sel:WORD_0
	ds_write_b128 v0, v[60:63]
	ds_write_b128 v0, v[64:67] offset:48
	ds_write_b128 v0, v[68:71] offset:96
	ds_write_b128 v0, v[76:79] offset:144
	ds_write_b128 v0, v[72:75] offset:192
	ds_write_b128 v0, v[80:83] offset:240
.LBB0_25:
	s_or_b32 exec_lo, exec_lo, s1
	s_waitcnt lgkmcnt(0)
	s_barrier
	buffer_gl0_inv
	ds_read_b128 v[4:7], v100
	ds_read_b128 v[0:3], v100 offset:1728
	ds_read_b128 v[84:87], v100 offset:4608
	;; [unrolled: 1-line block ×11, first 2 shown]
	s_and_saveexec_b32 s1, s0
	s_cbranch_execz .LBB0_27
; %bb.26:
	ds_read_b128 v[60:63], v100 offset:3456
	ds_read_b128 v[64:67], v100 offset:8064
	;; [unrolled: 1-line block ×6, first 2 shown]
.LBB0_27:
	s_or_b32 exec_lo, exec_lo, s1
	s_waitcnt lgkmcnt(5)
	v_mul_f64 v[32:33], v[166:167], v[24:25]
	s_waitcnt lgkmcnt(1)
	v_mul_f64 v[34:35], v[178:179], v[28:29]
	v_mul_f64 v[36:37], v[170:171], v[16:17]
	s_waitcnt lgkmcnt(0)
	v_mul_f64 v[38:39], v[174:175], v[20:21]
	v_mul_f64 v[40:41], v[166:167], v[26:27]
	;; [unrolled: 1-line block ×11, first 2 shown]
	s_mov_b32 s2, 0xe8584caa
	s_mov_b32 s3, 0xbfebb67a
	;; [unrolled: 1-line block ×4, first 2 shown]
	s_barrier
	buffer_gl0_inv
	v_fma_f64 v[26:27], v[164:165], v[26:27], -v[32:33]
	v_fma_f64 v[30:31], v[176:177], v[30:31], -v[34:35]
	v_mul_f64 v[32:33], v[150:151], v[8:9]
	v_mul_f64 v[34:35], v[170:171], v[18:19]
	v_fma_f64 v[18:19], v[168:169], v[18:19], -v[36:37]
	v_fma_f64 v[22:23], v[172:173], v[22:23], -v[38:39]
	v_mul_f64 v[36:37], v[126:127], v[94:95]
	v_mul_f64 v[38:39], v[126:127], v[92:93]
	v_fma_f64 v[24:25], v[164:165], v[24:25], v[40:41]
	v_fma_f64 v[28:29], v[176:177], v[28:29], v[44:45]
	v_fma_f64 v[40:41], v[120:121], v[86:87], -v[42:43]
	v_mul_f64 v[44:45], v[154:155], v[14:15]
	v_mul_f64 v[86:87], v[162:163], v[88:89]
	v_fma_f64 v[20:21], v[172:173], v[20:21], v[46:47]
	v_fma_f64 v[46:47], v[128:129], v[98:99], -v[50:51]
	v_fma_f64 v[14:15], v[152:153], v[14:15], -v[56:57]
	v_fma_f64 v[8:9], v[148:149], v[8:9], v[54:55]
	v_add_f64 v[42:43], v[26:27], v[30:31]
	v_fma_f64 v[10:11], v[148:149], v[10:11], -v[32:33]
	v_fma_f64 v[16:17], v[168:169], v[16:17], v[34:35]
	v_add_f64 v[32:33], v[18:19], v[22:23]
	v_fma_f64 v[34:35], v[124:125], v[92:93], v[36:37]
	v_fma_f64 v[36:37], v[124:125], v[94:95], -v[38:39]
	v_fma_f64 v[38:39], v[128:129], v[96:97], v[48:49]
	v_fma_f64 v[48:49], v[120:121], v[84:85], v[52:53]
	v_add_f64 v[50:51], v[24:25], v[28:29]
	v_add_f64 v[52:53], v[24:25], -v[28:29]
	v_fma_f64 v[12:13], v[152:153], v[12:13], v[44:45]
	v_fma_f64 v[44:45], v[160:161], v[88:89], v[58:59]
	v_fma_f64 v[56:57], v[160:161], v[90:91], -v[86:87]
	v_add_f64 v[92:93], v[26:27], -v[30:31]
	v_add_f64 v[96:97], v[18:19], -v[22:23]
	v_add_f64 v[26:27], v[40:41], v[26:27]
	v_fma_f64 v[42:43], v[42:43], -0.5, v[40:41]
	v_add_f64 v[54:55], v[16:17], v[20:21]
	v_add_f64 v[58:59], v[16:17], -v[20:21]
	v_fma_f64 v[32:33], v[32:33], -0.5, v[10:11]
	v_add_f64 v[84:85], v[4:5], v[34:35]
	v_add_f64 v[88:89], v[36:37], -v[46:47]
	v_add_f64 v[86:87], v[34:35], v[38:39]
	v_add_f64 v[90:91], v[6:7], v[36:37]
	;; [unrolled: 1-line block ×3, first 2 shown]
	v_fma_f64 v[50:51], v[50:51], -0.5, v[48:49]
	v_add_f64 v[24:25], v[48:49], v[24:25]
	v_add_f64 v[48:49], v[12:13], v[44:45]
	v_add_f64 v[34:35], v[34:35], -v[38:39]
	v_add_f64 v[98:99], v[14:15], -v[56:57]
	v_add_f64 v[10:11], v[10:11], v[18:19]
	v_add_f64 v[26:27], v[26:27], v[30:31]
	v_fma_f64 v[94:95], v[52:53], s[4:5], v[42:43]
	v_fma_f64 v[42:43], v[52:53], s[2:3], v[42:43]
	v_add_f64 v[52:53], v[14:15], v[56:57]
	v_fma_f64 v[54:55], v[54:55], -0.5, v[8:9]
	v_fma_f64 v[40:41], v[58:59], s[4:5], v[32:33]
	v_fma_f64 v[32:33], v[58:59], s[2:3], v[32:33]
	v_add_f64 v[14:15], v[2:3], v[14:15]
	v_add_f64 v[8:9], v[8:9], v[16:17]
	;; [unrolled: 1-line block ×3, first 2 shown]
	v_fma_f64 v[4:5], v[86:87], -0.5, v[4:5]
	v_add_f64 v[18:19], v[90:91], v[46:47]
	v_fma_f64 v[6:7], v[36:37], -0.5, v[6:7]
	v_fma_f64 v[36:37], v[92:93], s[2:3], v[50:51]
	v_add_f64 v[58:59], v[0:1], v[12:13]
	v_fma_f64 v[38:39], v[92:93], s[4:5], v[50:51]
	v_add_f64 v[12:13], v[12:13], -v[44:45]
	v_fma_f64 v[0:1], v[48:49], -0.5, v[0:1]
	v_add_f64 v[24:25], v[24:25], v[28:29]
	v_add_f64 v[22:23], v[10:11], v[22:23]
	v_mul_f64 v[46:47], v[94:95], s[2:3]
	v_mul_f64 v[84:85], v[94:95], 0.5
	v_mul_f64 v[50:51], v[42:43], s[2:3]
	v_mul_f64 v[42:43], v[42:43], -0.5
	v_fma_f64 v[2:3], v[52:53], -0.5, v[2:3]
	v_fma_f64 v[48:49], v[96:97], s[2:3], v[54:55]
	v_fma_f64 v[52:53], v[96:97], s[4:5], v[54:55]
	v_mul_f64 v[54:55], v[40:41], s[2:3]
	v_mul_f64 v[40:41], v[40:41], 0.5
	v_mul_f64 v[86:87], v[32:33], s[2:3]
	v_mul_f64 v[32:33], v[32:33], -0.5
	v_add_f64 v[14:15], v[14:15], v[56:57]
	v_fma_f64 v[30:31], v[88:89], s[2:3], v[4:5]
	v_fma_f64 v[56:57], v[34:35], s[4:5], v[6:7]
	v_add_f64 v[28:29], v[58:59], v[44:45]
	v_add_f64 v[20:21], v[8:9], v[20:21]
	v_fma_f64 v[44:45], v[88:89], s[4:5], v[4:5]
	v_fma_f64 v[34:35], v[34:35], s[2:3], v[6:7]
	;; [unrolled: 1-line block ×3, first 2 shown]
	v_add_f64 v[4:5], v[16:17], -v[24:25]
	v_add_f64 v[6:7], v[18:19], -v[26:27]
	v_fma_f64 v[46:47], v[36:37], 0.5, v[46:47]
	v_fma_f64 v[36:37], v[36:37], s[4:5], v[84:85]
	v_fma_f64 v[50:51], v[38:39], -0.5, v[50:51]
	v_fma_f64 v[38:39], v[38:39], s[4:5], v[42:43]
	v_fma_f64 v[42:43], v[98:99], s[2:3], v[0:1]
	;; [unrolled: 1-line block ×4, first 2 shown]
	v_fma_f64 v[54:55], v[48:49], 0.5, v[54:55]
	v_fma_f64 v[48:49], v[48:49], s[4:5], v[40:41]
	v_fma_f64 v[86:87], v[52:53], -0.5, v[86:87]
	v_fma_f64 v[52:53], v[52:53], s[4:5], v[32:33]
	v_add_f64 v[0:1], v[16:17], v[24:25]
	v_add_f64 v[2:3], v[18:19], v[26:27]
	;; [unrolled: 1-line block ×3, first 2 shown]
	v_add_f64 v[14:15], v[14:15], -v[22:23]
	v_add_f64 v[8:9], v[28:29], v[20:21]
	v_add_f64 v[12:13], v[28:29], -v[20:21]
	v_add_f64 v[16:17], v[30:31], v[46:47]
	v_add_f64 v[18:19], v[56:57], v[36:37]
	;; [unrolled: 1-line block ×4, first 2 shown]
	v_add_f64 v[24:25], v[30:31], -v[46:47]
	v_add_f64 v[26:27], v[56:57], -v[36:37]
	;; [unrolled: 1-line block ×4, first 2 shown]
	v_add_f64 v[32:33], v[42:43], v[54:55]
	v_add_f64 v[34:35], v[84:85], v[48:49]
	;; [unrolled: 1-line block ×4, first 2 shown]
	v_add_f64 v[40:41], v[42:43], -v[54:55]
	v_add_f64 v[42:43], v[84:85], -v[48:49]
	;; [unrolled: 1-line block ×4, first 2 shown]
	ds_write_b128 v103, v[0:3]
	ds_write_b128 v103, v[4:7] offset:864
	ds_write_b128 v103, v[16:19] offset:288
	;; [unrolled: 1-line block ×5, first 2 shown]
	ds_write_b128 v136, v[8:11]
	ds_write_b128 v136, v[32:35] offset:288
	ds_write_b128 v136, v[36:39] offset:576
	;; [unrolled: 1-line block ×5, first 2 shown]
	s_and_saveexec_b32 s1, s0
	s_cbranch_execz .LBB0_29
; %bb.28:
	s_clause 0x7
	buffer_load_dword v16, off, s[24:27], 0 offset:428
	buffer_load_dword v17, off, s[24:27], 0 offset:432
	;; [unrolled: 1-line block ×8, first 2 shown]
	s_waitcnt vmcnt(4)
	v_mul_f64 v[0:1], v[18:19], v[76:77]
	s_waitcnt vmcnt(0)
	v_mul_f64 v[2:3], v[22:23], v[80:81]
	v_mul_f64 v[6:7], v[22:23], v[82:83]
	s_clause 0xb
	buffer_load_dword v22, off, s[24:27], 0 offset:396
	buffer_load_dword v23, off, s[24:27], 0 offset:400
	;; [unrolled: 1-line block ×12, first 2 shown]
	v_mul_f64 v[4:5], v[18:19], v[78:79]
	v_fma_f64 v[0:1], v[16:17], v[78:79], -v[0:1]
	v_fma_f64 v[2:3], v[20:21], v[82:83], -v[2:3]
	v_fma_f64 v[6:7], v[20:21], v[80:81], v[6:7]
	v_fma_f64 v[4:5], v[16:17], v[76:77], v[4:5]
	v_add_f64 v[16:17], v[0:1], v[2:3]
	s_waitcnt vmcnt(8)
	v_mul_f64 v[8:9], v[24:25], v[64:65]
	s_waitcnt vmcnt(4)
	v_mul_f64 v[10:11], v[28:29], v[68:69]
	;; [unrolled: 2-line block ×3, first 2 shown]
	v_mul_f64 v[14:15], v[24:25], v[66:67]
	v_mul_f64 v[18:19], v[28:29], v[70:71]
	;; [unrolled: 1-line block ×3, first 2 shown]
	v_add_f64 v[24:25], v[4:5], -v[6:7]
	v_add_f64 v[28:29], v[0:1], -v[2:3]
	v_fma_f64 v[8:9], v[22:23], v[66:67], -v[8:9]
	v_fma_f64 v[10:11], v[26:27], v[70:71], -v[10:11]
	;; [unrolled: 1-line block ×3, first 2 shown]
	v_fma_f64 v[14:15], v[22:23], v[64:65], v[14:15]
	v_add_f64 v[22:23], v[4:5], v[6:7]
	v_fma_f64 v[18:19], v[26:27], v[68:69], v[18:19]
	v_fma_f64 v[20:21], v[30:31], v[72:73], v[20:21]
	v_fma_f64 v[16:17], v[16:17], -0.5, v[8:9]
	v_add_f64 v[34:35], v[10:11], v[62:63]
	v_add_f64 v[26:27], v[12:13], v[10:11]
	v_add_f64 v[0:1], v[0:1], v[8:9]
	v_fma_f64 v[22:23], v[22:23], -0.5, v[14:15]
	v_add_f64 v[8:9], v[10:11], -v[12:13]
	v_add_f64 v[32:33], v[18:19], -v[20:21]
	v_add_f64 v[10:11], v[18:19], v[60:61]
	v_add_f64 v[4:5], v[4:5], v[14:15]
	v_fma_f64 v[30:31], v[24:25], s[2:3], v[16:17]
	v_fma_f64 v[16:17], v[24:25], s[4:5], v[16:17]
	v_add_f64 v[24:25], v[20:21], v[18:19]
	v_fma_f64 v[14:15], v[26:27], -0.5, v[62:63]
	v_fma_f64 v[18:19], v[28:29], s[4:5], v[22:23]
	v_fma_f64 v[22:23], v[28:29], s[2:3], v[22:23]
	v_add_f64 v[12:13], v[12:13], v[34:35]
	v_add_f64 v[34:35], v[2:3], v[0:1]
	;; [unrolled: 1-line block ×4, first 2 shown]
	v_mul_f64 v[26:27], v[30:31], -0.5
	v_mul_f64 v[28:29], v[16:17], 0.5
	v_fma_f64 v[24:25], v[24:25], -0.5, v[60:61]
	v_mul_f64 v[16:17], v[16:17], s[2:3]
	v_mul_f64 v[30:31], v[30:31], s[2:3]
	v_fma_f64 v[20:21], v[32:33], s[2:3], v[14:15]
	v_fma_f64 v[32:33], v[32:33], s[4:5], v[14:15]
	v_add_f64 v[2:3], v[12:13], -v[34:35]
	v_add_f64 v[6:7], v[12:13], v[34:35]
	v_add_f64 v[0:1], v[10:11], -v[4:5]
	v_add_f64 v[4:5], v[10:11], v[4:5]
	v_fma_f64 v[26:27], v[18:19], s[4:5], v[26:27]
	v_fma_f64 v[28:29], v[22:23], s[4:5], v[28:29]
	;; [unrolled: 1-line block ×4, first 2 shown]
	v_fma_f64 v[24:25], v[22:23], 0.5, v[16:17]
	v_fma_f64 v[30:31], v[18:19], -0.5, v[30:31]
	v_add_f64 v[10:11], v[20:21], -v[26:27]
	v_add_f64 v[18:19], v[20:21], v[26:27]
	v_add_f64 v[22:23], v[32:33], v[28:29]
	v_add_f64 v[14:15], v[32:33], -v[28:29]
	v_add_f64 v[20:21], v[8:9], v[24:25]
	v_add_f64 v[12:13], v[8:9], -v[24:25]
	buffer_load_dword v25, off, s[24:27], 0 offset:376 ; 4-byte Folded Reload
	v_add_f64 v[16:17], v[36:37], v[30:31]
	v_add_f64 v[8:9], v[36:37], -v[30:31]
	v_mov_b32_e32 v24, 4
	s_waitcnt vmcnt(0)
	v_lshlrev_b32_sdwa v24, v24, v25 dst_sel:DWORD dst_unused:UNUSED_PAD src0_sel:DWORD src1_sel:WORD_0
	ds_write_b128 v24, v[4:7]
	ds_write_b128 v24, v[0:3] offset:864
	ds_write_b128 v24, v[20:23] offset:288
	;; [unrolled: 1-line block ×5, first 2 shown]
.LBB0_29:
	s_or_b32 exec_lo, exec_lo, s1
	s_waitcnt lgkmcnt(0)
	s_barrier
	buffer_gl0_inv
	ds_read_b128 v[0:3], v100 offset:1728
	ds_read_b128 v[4:7], v100 offset:3456
	;; [unrolled: 1-line block ×5, first 2 shown]
	ds_read_b128 v[20:23], v100
	ds_read_b128 v[24:27], v100 offset:10368
	ds_read_b128 v[28:31], v100 offset:12096
	ds_read_b128 v[32:35], v100 offset:13824
	ds_read_b128 v[36:39], v100 offset:15552
	ds_read_b128 v[40:43], v100 offset:17280
	ds_read_b128 v[44:47], v100 offset:20736
	ds_read_b128 v[48:51], v100 offset:19008
	ds_read_b128 v[52:55], v100 offset:22464
	ds_read_b128 v[56:59], v100 offset:24192
	ds_read_b128 v[60:63], v100 offset:25920
	s_mov_b32 s0, 0x667f3bcd
	s_mov_b32 s1, 0xbfe6a09e
	;; [unrolled: 1-line block ×7, first 2 shown]
	s_waitcnt lgkmcnt(15)
	v_mul_f64 v[64:65], v[194:195], v[2:3]
	v_mul_f64 v[66:67], v[194:195], v[0:1]
	s_waitcnt lgkmcnt(14)
	v_mul_f64 v[68:69], v[190:191], v[6:7]
	v_mul_f64 v[70:71], v[190:191], v[4:5]
	;; [unrolled: 3-line block ×8, first 2 shown]
	v_mul_f64 v[76:77], v[182:183], v[14:15]
	v_mul_f64 v[78:79], v[182:183], v[12:13]
	s_waitcnt lgkmcnt(0)
	v_mul_f64 v[101:102], v[238:239], v[60:61]
	v_mul_f64 v[103:104], v[238:239], v[62:63]
	s_mov_b32 s14, s4
	s_mov_b32 s12, 0xa6aea964
	v_fma_f64 v[0:1], v[192:193], v[0:1], v[64:65]
	v_fma_f64 v[2:3], v[192:193], v[2:3], -v[66:67]
	v_mul_f64 v[64:65], v[222:223], v[58:59]
	v_mul_f64 v[66:67], v[222:223], v[56:57]
	v_fma_f64 v[4:5], v[188:189], v[4:5], v[68:69]
	v_fma_f64 v[6:7], v[188:189], v[6:7], -v[70:71]
	v_fma_f64 v[8:9], v[184:185], v[8:9], v[72:73]
	v_fma_f64 v[10:11], v[184:185], v[10:11], -v[74:75]
	v_mul_f64 v[68:69], v[226:227], v[38:39]
	v_mul_f64 v[70:71], v[226:227], v[36:37]
	;; [unrolled: 1-line block ×4, first 2 shown]
	v_fma_f64 v[16:17], v[208:209], v[16:17], v[80:81]
	v_fma_f64 v[18:19], v[208:209], v[18:19], -v[82:83]
	v_mul_f64 v[80:81], v[234:235], v[50:51]
	v_mul_f64 v[82:83], v[234:235], v[48:49]
	v_fma_f64 v[24:25], v[204:205], v[24:25], v[84:85]
	v_fma_f64 v[26:27], v[204:205], v[26:27], -v[86:87]
	v_mul_f64 v[84:85], v[198:199], v[30:31]
	v_mul_f64 v[86:87], v[198:199], v[28:29]
	v_fma_f64 v[32:33], v[200:201], v[32:33], v[88:89]
	v_fma_f64 v[34:35], v[200:201], v[34:35], -v[90:91]
	v_fma_f64 v[44:45], v[212:213], v[44:45], v[96:97]
	v_fma_f64 v[46:47], v[212:213], v[46:47], -v[98:99]
	;; [unrolled: 2-line block ×7, first 2 shown]
	v_fma_f64 v[62:63], v[236:237], v[62:63], -v[101:102]
	v_fma_f64 v[60:61], v[236:237], v[60:61], v[103:104]
	v_fma_f64 v[48:49], v[232:233], v[48:49], v[80:81]
	v_fma_f64 v[50:51], v[232:233], v[50:51], -v[82:83]
	s_mov_b32 s13, 0x3fd87de2
	s_mov_b32 s17, 0xbfd87de2
	v_fma_f64 v[28:29], v[196:197], v[28:29], v[84:85]
	v_fma_f64 v[30:31], v[196:197], v[30:31], -v[86:87]
	v_add_f64 v[32:33], v[20:21], -v[32:33]
	v_add_f64 v[34:35], v[22:23], -v[34:35]
	;; [unrolled: 1-line block ×8, first 2 shown]
	s_mov_b32 s16, s12
	v_add_f64 v[36:37], v[0:1], -v[36:37]
	v_add_f64 v[38:39], v[2:3], -v[38:39]
	;; [unrolled: 1-line block ×8, first 2 shown]
	v_fma_f64 v[20:21], v[20:21], 2.0, -v[32:33]
	v_fma_f64 v[22:23], v[22:23], 2.0, -v[34:35]
	;; [unrolled: 1-line block ×8, first 2 shown]
	v_add_f64 v[46:47], v[32:33], v[46:47]
	v_add_f64 v[44:45], v[34:35], -v[44:45]
	v_add_f64 v[58:59], v[40:41], v[58:59]
	v_add_f64 v[56:57], v[42:43], -v[56:57]
	v_fma_f64 v[16:17], v[16:17], 2.0, -v[52:53]
	v_fma_f64 v[18:19], v[18:19], 2.0, -v[54:55]
	v_add_f64 v[54:55], v[36:37], v[54:55]
	v_add_f64 v[52:53], v[38:39], -v[52:53]
	v_fma_f64 v[0:1], v[0:1], 2.0, -v[36:37]
	v_fma_f64 v[2:3], v[2:3], 2.0, -v[38:39]
	;; [unrolled: 1-line block ×4, first 2 shown]
	v_add_f64 v[66:67], v[50:51], -v[60:61]
	v_add_f64 v[64:65], v[48:49], v[62:63]
	v_fma_f64 v[28:29], v[28:29], 2.0, -v[60:61]
	v_fma_f64 v[30:31], v[30:31], 2.0, -v[62:63]
	v_add_f64 v[8:9], v[20:21], -v[8:9]
	v_add_f64 v[10:11], v[22:23], -v[10:11]
	;; [unrolled: 1-line block ×4, first 2 shown]
	v_fma_f64 v[32:33], v[32:33], 2.0, -v[46:47]
	v_fma_f64 v[34:35], v[34:35], 2.0, -v[44:45]
	;; [unrolled: 1-line block ×4, first 2 shown]
	v_fma_f64 v[60:61], v[58:59], s[2:3], v[46:47]
	v_fma_f64 v[62:63], v[56:57], s[2:3], v[44:45]
	v_fma_f64 v[36:37], v[36:37], 2.0, -v[54:55]
	v_fma_f64 v[38:39], v[38:39], 2.0, -v[52:53]
	v_add_f64 v[16:17], v[0:1], -v[16:17]
	v_add_f64 v[18:19], v[2:3], -v[18:19]
	v_fma_f64 v[50:51], v[50:51], 2.0, -v[66:67]
	v_fma_f64 v[48:49], v[48:49], 2.0, -v[64:65]
	v_add_f64 v[28:29], v[12:13], -v[28:29]
	v_add_f64 v[30:31], v[14:15], -v[30:31]
	v_fma_f64 v[20:21], v[20:21], 2.0, -v[8:9]
	v_fma_f64 v[22:23], v[22:23], 2.0, -v[10:11]
	v_fma_f64 v[68:69], v[64:65], s[2:3], v[54:55]
	v_fma_f64 v[70:71], v[66:67], s[2:3], v[52:53]
	v_fma_f64 v[4:5], v[4:5], 2.0, -v[24:25]
	v_fma_f64 v[6:7], v[6:7], 2.0, -v[26:27]
	v_add_f64 v[80:81], v[8:9], v[26:27]
	v_add_f64 v[82:83], v[10:11], -v[24:25]
	v_fma_f64 v[72:73], v[40:41], s[0:1], v[32:33]
	v_fma_f64 v[74:75], v[42:43], s[0:1], v[34:35]
	;; [unrolled: 1-line block ×4, first 2 shown]
	v_fma_f64 v[0:1], v[0:1], 2.0, -v[16:17]
	v_fma_f64 v[2:3], v[2:3], 2.0, -v[18:19]
	v_fma_f64 v[78:79], v[50:51], s[0:1], v[38:39]
	v_fma_f64 v[76:77], v[48:49], s[0:1], v[36:37]
	v_fma_f64 v[12:13], v[12:13], 2.0, -v[28:29]
	v_fma_f64 v[14:15], v[14:15], 2.0, -v[30:31]
	v_fma_f64 v[24:25], v[66:67], s[2:3], v[68:69]
	v_fma_f64 v[26:27], v[64:65], s[0:1], v[70:71]
	v_add_f64 v[84:85], v[20:21], -v[4:5]
	v_add_f64 v[86:87], v[22:23], -v[6:7]
	v_add_f64 v[6:7], v[16:17], v[30:31]
	v_add_f64 v[4:5], v[18:19], -v[28:29]
	v_fma_f64 v[60:61], v[42:43], s[2:3], v[72:73]
	v_fma_f64 v[62:63], v[40:41], s[0:1], v[74:75]
	v_fma_f64 v[68:69], v[46:47], 2.0, -v[56:57]
	v_fma_f64 v[70:71], v[44:45], 2.0, -v[58:59]
	v_fma_f64 v[30:31], v[48:49], s[0:1], v[78:79]
	v_fma_f64 v[28:29], v[50:51], s[2:3], v[76:77]
	v_add_f64 v[12:13], v[0:1], -v[12:13]
	v_add_f64 v[14:15], v[2:3], -v[14:15]
	v_fma_f64 v[48:49], v[8:9], 2.0, -v[80:81]
	v_fma_f64 v[50:51], v[10:11], 2.0, -v[82:83]
	;; [unrolled: 1-line block ×10, first 2 shown]
	v_fma_f64 v[8:9], v[6:7], s[2:3], v[80:81]
	v_fma_f64 v[10:11], v[4:5], s[2:3], v[82:83]
	;; [unrolled: 1-line block ×3, first 2 shown]
	v_fma_f64 v[34:35], v[38:39], 2.0, -v[30:31]
	v_fma_f64 v[32:33], v[36:37], 2.0, -v[28:29]
	v_fma_f64 v[38:39], v[24:25], s[14:15], v[56:57]
	v_fma_f64 v[18:19], v[0:1], 2.0, -v[12:13]
	v_fma_f64 v[36:37], v[2:3], 2.0, -v[14:15]
	v_fma_f64 v[76:77], v[28:29], s[12:13], v[60:61]
	v_fma_f64 v[78:79], v[30:31], s[12:13], v[62:63]
	;; [unrolled: 1-line block ×3, first 2 shown]
	v_add_f64 v[0:1], v[84:85], v[14:15]
	v_add_f64 v[2:3], v[86:87], -v[12:13]
	v_fma_f64 v[44:45], v[20:21], s[0:1], v[48:49]
	v_fma_f64 v[46:47], v[16:17], s[0:1], v[50:51]
	;; [unrolled: 1-line block ×9, first 2 shown]
	v_add_f64 v[12:13], v[64:65], -v[18:19]
	v_add_f64 v[14:15], v[66:67], -v[36:37]
	v_fma_f64 v[24:25], v[30:31], s[14:15], v[76:77]
	v_fma_f64 v[26:27], v[28:29], s[4:5], v[78:79]
	;; [unrolled: 1-line block ×3, first 2 shown]
	s_mul_hi_u32 s4, s8, 0x240
	v_fma_f64 v[16:17], v[16:17], s[2:3], v[44:45]
	v_fma_f64 v[18:19], v[20:21], s[0:1], v[46:47]
	;; [unrolled: 1-line block ×3, first 2 shown]
	s_mul_i32 s1, s9, 0x240
	s_mul_i32 s0, s8, 0x240
	v_fma_f64 v[36:37], v[80:81], 2.0, -v[4:5]
	v_fma_f64 v[38:39], v[82:83], 2.0, -v[6:7]
	;; [unrolled: 1-line block ×3, first 2 shown]
	s_add_i32 s1, s4, s1
	s_mov_b32 s2, 0xbda12f68
	s_lshl_b64 s[4:5], s[0:1], 4
	s_mov_b32 s3, 0x3f42f684
	v_fma_f64 v[30:31], v[32:33], s[16:17], v[90:91]
	v_fma_f64 v[28:29], v[34:35], s[12:13], v[88:89]
	v_fma_f64 v[32:33], v[84:85], 2.0, -v[0:1]
	v_fma_f64 v[34:35], v[86:87], 2.0, -v[2:3]
	;; [unrolled: 1-line block ×11, first 2 shown]
	s_clause 0x1
	buffer_load_dword v64, off, s[24:27], 0 offset:68
	buffer_load_dword v65, off, s[24:27], 0 offset:72
	v_fma_f64 v[62:63], v[74:75], 2.0, -v[30:31]
	v_fma_f64 v[60:61], v[72:73], 2.0, -v[28:29]
	ds_write_b128 v100, v[0:3] offset:20736
	ds_write_b128 v100, v[4:7] offset:24192
	;; [unrolled: 1-line block ×10, first 2 shown]
	ds_write_b128 v100, v[44:47]
	ds_write_b128 v100, v[48:51] offset:3456
	ds_write_b128 v100, v[52:55] offset:5184
	;; [unrolled: 1-line block ×5, first 2 shown]
	s_waitcnt vmcnt(0) lgkmcnt(0)
	s_barrier
	buffer_gl0_inv
	s_clause 0x1
	buffer_load_dword v17, off, s[24:27], 0 offset:64
	buffer_load_dword v23, off, s[24:27], 0 offset:172
	ds_read_b128 v[0:3], v100
	ds_read_b128 v[4:7], v100 offset:9216
	v_mov_b32_e32 v66, v64
	v_mad_u64_u32 v[64:65], null, s10, v66, 0
	s_mul_i32 s10, s9, 0xffffe2c0
	s_sub_i32 s1, s10, s8
	v_mov_b32_e32 v8, v65
	v_mad_u64_u32 v[20:21], null, s11, v66, v[8:9]
	ds_read_b128 v[8:11], v100 offset:18432
	ds_read_b128 v[12:15], v100 offset:1728
	s_waitcnt vmcnt(1)
	v_mad_u64_u32 v[32:33], null, s8, v17, 0
	s_waitcnt vmcnt(0)
	v_mad_u64_u32 v[34:35], null, s8, v23, 0
	v_mov_b32_e32 v65, v20
	v_mov_b32_e32 v16, v33
	v_mad_u64_u32 v[21:22], null, s9, v17, v[16:17]
	v_mov_b32_e32 v22, v35
	ds_read_b128 v[16:19], v100 offset:10944
	s_clause 0x3
	buffer_load_dword v57, off, s[24:27], 0 offset:16
	buffer_load_dword v58, off, s[24:27], 0 offset:20
	;; [unrolled: 1-line block ×4, first 2 shown]
	v_mad_u64_u32 v[40:41], null, s9, v23, v[22:23]
	v_mov_b32_e32 v33, v21
	ds_read_b128 v[20:23], v100 offset:20160
	ds_read_b128 v[24:27], v100 offset:12672
	;; [unrolled: 1-line block ×3, first 2 shown]
	s_clause 0xb
	buffer_load_dword v79, off, s[24:27], 0 offset:140
	buffer_load_dword v80, off, s[24:27], 0 offset:144
	;; [unrolled: 1-line block ×12, first 2 shown]
	v_lshlrev_b64 v[32:33], 4, v[32:33]
	v_mov_b32_e32 v35, v40
	s_waitcnt vmcnt(12) lgkmcnt(7)
	v_mul_f64 v[36:37], v[59:60], v[2:3]
	v_mul_f64 v[38:39], v[59:60], v[0:1]
	v_lshlrev_b64 v[59:60], 4, v[34:35]
	s_waitcnt vmcnt(8) lgkmcnt(6)
	v_mul_f64 v[41:42], v[81:82], v[6:7]
	s_waitcnt vmcnt(4) lgkmcnt(5)
	v_mul_f64 v[45:46], v[73:74], v[10:11]
	v_mul_f64 v[47:48], v[73:74], v[8:9]
	s_clause 0x3
	buffer_load_dword v73, off, s[24:27], 0 offset:124
	buffer_load_dword v74, off, s[24:27], 0 offset:128
	;; [unrolled: 1-line block ×4, first 2 shown]
	v_mul_f64 v[43:44], v[81:82], v[4:5]
	s_waitcnt vmcnt(4) lgkmcnt(4)
	v_mul_f64 v[49:50], v[68:69], v[14:15]
	v_mul_f64 v[51:52], v[68:69], v[12:13]
	v_fma_f64 v[36:37], v[57:58], v[0:1], v[36:37]
	v_fma_f64 v[38:39], v[57:58], v[2:3], -v[38:39]
	ds_read_b128 v[0:3], v100 offset:3456
	v_lshlrev_b64 v[57:58], 4, v[64:65]
	v_fma_f64 v[34:35], v[79:80], v[4:5], v[41:42]
	v_add_co_u32 v69, s0, s6, v57
	v_fma_f64 v[40:41], v[79:80], v[6:7], -v[43:44]
	v_fma_f64 v[42:43], v[71:72], v[8:9], v[45:46]
	v_fma_f64 v[44:45], v[71:72], v[10:11], -v[47:48]
	v_fma_f64 v[46:47], v[66:67], v[12:13], v[49:50]
	v_fma_f64 v[48:49], v[66:67], v[14:15], -v[51:52]
	v_add_co_ci_u32_e64 v70, s0, s7, v58, s0
	v_add_co_u32 v61, s0, v69, v32
	v_add_co_ci_u32_e64 v62, s0, v70, v33, s0
	v_mul_f64 v[4:5], v[36:37], s[2:3]
	v_mul_f64 v[6:7], v[38:39], s[2:3]
	v_add_co_u32 v65, s0, v61, s4
	v_add_co_ci_u32_e64 v66, s0, s5, v62, s0
	v_mul_f64 v[12:13], v[34:35], s[2:3]
	v_mul_f64 v[14:15], v[40:41], s[2:3]
	v_mad_u64_u32 v[40:41], null, 0xffffe2c0, s8, v[65:66]
	v_mul_f64 v[32:33], v[46:47], s[2:3]
	v_mul_f64 v[34:35], v[48:49], s[2:3]
	v_add_nc_u32_e32 v41, s1, v41
	s_mul_i32 s1, s9, 0xfffffbec
	s_waitcnt vmcnt(0) lgkmcnt(4)
	v_mul_f64 v[53:54], v[75:76], v[18:19]
	v_mul_f64 v[55:56], v[75:76], v[16:17]
	s_clause 0x3
	buffer_load_dword v75, off, s[24:27], 0 offset:92
	buffer_load_dword v76, off, s[24:27], 0 offset:96
	;; [unrolled: 1-line block ×4, first 2 shown]
	ds_read_b128 v[8:11], v100 offset:5184
	v_fma_f64 v[50:51], v[73:74], v[16:17], v[53:54]
	v_fma_f64 v[52:53], v[73:74], v[18:19], -v[55:56]
	s_clause 0x3
	buffer_load_dword v71, off, s[24:27], 0 offset:76
	buffer_load_dword v72, off, s[24:27], 0 offset:80
	;; [unrolled: 1-line block ×4, first 2 shown]
	v_mul_f64 v[16:17], v[42:43], s[2:3]
	v_mul_f64 v[18:19], v[44:45], s[2:3]
	v_add_co_u32 v42, s0, v69, v59
	v_add_co_ci_u32_e64 v43, s0, v70, v60, s0
	v_add_co_u32 v46, s0, v40, s4
	v_add_co_ci_u32_e64 v47, s0, s5, v41, s0
	global_store_dwordx4 v[61:62], v[4:7], off
	ds_read_b128 v[4:7], v100 offset:21888
	v_mul_f64 v[36:37], v[50:51], s[2:3]
	v_mul_f64 v[38:39], v[52:53], s[2:3]
	global_store_dwordx4 v[65:66], v[12:15], off
	global_store_dwordx4 v[42:43], v[16:19], off
	;; [unrolled: 1-line block ×4, first 2 shown]
	v_add_co_u32 v46, s0, v46, s4
	v_add_co_ci_u32_e64 v47, s0, s5, v47, s0
	s_mul_hi_u32 s0, s8, 0xfffffbec
	s_sub_i32 s0, s0, s8
	s_add_i32 s1, s0, s1
	s_mul_i32 s0, s8, 0xfffffbec
	s_lshl_b64 s[6:7], s[0:1], 4
	s_waitcnt vmcnt(4) lgkmcnt(5)
	v_mul_f64 v[57:58], v[77:78], v[22:23]
	v_mul_f64 v[54:55], v[77:78], v[20:21]
	v_fma_f64 v[20:21], v[75:76], v[20:21], v[57:58]
	v_fma_f64 v[22:23], v[75:76], v[22:23], -v[54:55]
	s_clause 0x3
	buffer_load_dword v54, off, s[24:27], 0 offset:176
	buffer_load_dword v55, off, s[24:27], 0 offset:180
	;; [unrolled: 1-line block ×4, first 2 shown]
	s_waitcnt vmcnt(4) lgkmcnt(2)
	v_mul_f64 v[63:64], v[73:74], v[2:3]
	v_mul_f64 v[67:68], v[73:74], v[0:1]
	ds_read_b128 v[12:15], v100 offset:23616
	v_fma_f64 v[44:45], v[71:72], v[0:1], v[63:64]
	v_fma_f64 v[48:49], v[71:72], v[2:3], -v[67:68]
	v_mul_f64 v[2:3], v[22:23], s[2:3]
	v_mul_f64 v[0:1], v[20:21], s[2:3]
	;; [unrolled: 1-line block ×4, first 2 shown]
	v_add_co_u32 v44, s0, v46, s6
	v_add_co_ci_u32_e64 v45, s0, s7, v47, s0
	s_waitcnt vmcnt(0)
	v_mul_f64 v[40:41], v[56:57], v[26:27]
	v_mul_f64 v[42:43], v[56:57], v[24:25]
	s_clause 0x3
	buffer_load_dword v56, off, s[24:27], 0 offset:156
	buffer_load_dword v57, off, s[24:27], 0 offset:160
	;; [unrolled: 1-line block ×4, first 2 shown]
	ds_read_b128 v[16:19], v100 offset:14400
	ds_read_b128 v[32:35], v100 offset:16128
	;; [unrolled: 1-line block ×3, first 2 shown]
	s_clause 0x7
	buffer_load_dword v68, off, s[24:27], 0 offset:108
	buffer_load_dword v69, off, s[24:27], 0 offset:112
	;; [unrolled: 1-line block ×8, first 2 shown]
	v_fma_f64 v[24:25], v[54:55], v[24:25], v[40:41]
	v_fma_f64 v[26:27], v[54:55], v[26:27], -v[42:43]
	s_waitcnt vmcnt(8) lgkmcnt(4)
	v_mul_f64 v[50:51], v[58:59], v[6:7]
	v_mul_f64 v[52:53], v[58:59], v[4:5]
	s_waitcnt vmcnt(4)
	v_mul_f64 v[40:41], v[70:71], v[10:11]
	v_mul_f64 v[42:43], v[70:71], v[8:9]
	s_waitcnt vmcnt(0) lgkmcnt(2)
	v_mul_f64 v[48:49], v[76:77], v[18:19]
	v_mul_f64 v[54:55], v[76:77], v[16:17]
	s_clause 0x7
	buffer_load_dword v70, off, s[24:27], 0 offset:192
	buffer_load_dword v71, off, s[24:27], 0 offset:196
	;; [unrolled: 1-line block ×8, first 2 shown]
	v_fma_f64 v[4:5], v[56:57], v[4:5], v[50:51]
	v_fma_f64 v[6:7], v[56:57], v[6:7], -v[52:53]
	v_fma_f64 v[8:9], v[68:69], v[8:9], v[40:41]
	v_fma_f64 v[10:11], v[68:69], v[10:11], -v[42:43]
	v_fma_f64 v[16:17], v[74:75], v[16:17], v[48:49]
	v_fma_f64 v[18:19], v[74:75], v[18:19], -v[54:55]
	v_add_co_u32 v40, s0, v44, s4
	v_add_co_ci_u32_e64 v41, s0, s5, v45, s0
	v_mul_f64 v[4:5], v[4:5], s[2:3]
	v_mul_f64 v[6:7], v[6:7], s[2:3]
	;; [unrolled: 1-line block ×4, first 2 shown]
	s_waitcnt vmcnt(4)
	v_mul_f64 v[50:51], v[72:73], v[14:15]
	s_waitcnt vmcnt(0)
	v_mul_f64 v[56:57], v[78:79], v[30:31]
	v_mul_f64 v[58:59], v[78:79], v[28:29]
	s_clause 0x3
	buffer_load_dword v78, off, s[24:27], 0 offset:240
	buffer_load_dword v79, off, s[24:27], 0 offset:244
	;; [unrolled: 1-line block ×4, first 2 shown]
	v_mul_f64 v[52:53], v[72:73], v[12:13]
	s_waitcnt vmcnt(0) lgkmcnt(1)
	v_mul_f64 v[60:61], v[80:81], v[34:35]
	v_mul_f64 v[62:63], v[80:81], v[32:33]
	s_clause 0x3
	buffer_load_dword v80, off, s[24:27], 0 offset:256
	buffer_load_dword v81, off, s[24:27], 0 offset:260
	;; [unrolled: 1-line block ×4, first 2 shown]
	global_store_dwordx4 v[46:47], v[0:3], off
	global_store_dwordx4 v[44:45], v[20:23], off
	v_mul_f64 v[0:1], v[24:25], s[2:3]
	v_fma_f64 v[20:21], v[70:71], v[12:13], v[50:51]
	v_fma_f64 v[24:25], v[76:77], v[28:29], v[56:57]
	v_fma_f64 v[22:23], v[70:71], v[14:15], -v[52:53]
	v_mul_f64 v[2:3], v[26:27], s[2:3]
	v_fma_f64 v[26:27], v[76:77], v[30:31], -v[58:59]
	v_mul_f64 v[12:13], v[16:17], s[2:3]
	v_mul_f64 v[14:15], v[18:19], s[2:3]
	v_fma_f64 v[28:29], v[78:79], v[32:33], v[60:61]
	v_fma_f64 v[30:31], v[78:79], v[34:35], -v[62:63]
	v_mul_f64 v[16:17], v[20:21], s[2:3]
	v_mul_f64 v[20:21], v[24:25], s[2:3]
	;; [unrolled: 1-line block ×3, first 2 shown]
	global_store_dwordx4 v[40:41], v[0:3], off
	v_mul_f64 v[22:23], v[26:27], s[2:3]
	v_mul_f64 v[24:25], v[28:29], s[2:3]
	;; [unrolled: 1-line block ×3, first 2 shown]
	s_waitcnt vmcnt(0) lgkmcnt(0)
	v_mul_f64 v[64:65], v[82:83], v[38:39]
	v_mul_f64 v[66:67], v[82:83], v[36:37]
	v_fma_f64 v[32:33], v[80:81], v[36:37], v[64:65]
	v_fma_f64 v[34:35], v[80:81], v[38:39], -v[66:67]
	v_add_co_u32 v36, s0, v40, s4
	v_add_co_ci_u32_e64 v37, s0, s5, v41, s0
	v_add_co_u32 v38, s0, v36, s6
	v_add_co_ci_u32_e64 v39, s0, s7, v37, s0
	global_store_dwordx4 v[36:37], v[4:7], off
	v_add_co_u32 v42, s0, v38, s4
	v_add_co_ci_u32_e64 v43, s0, s5, v39, s0
	global_store_dwordx4 v[38:39], v[8:11], off
	v_mul_f64 v[28:29], v[32:33], s[2:3]
	v_add_co_u32 v32, s0, v42, s4
	v_add_co_ci_u32_e64 v33, s0, s5, v43, s0
	v_mul_f64 v[30:31], v[34:35], s[2:3]
	v_add_co_u32 v2, s0, v32, s6
	v_add_co_ci_u32_e64 v3, s0, s7, v33, s0
	v_add_co_u32 v4, s0, v2, s4
	v_add_co_ci_u32_e64 v5, s0, s5, v3, s0
	;; [unrolled: 2-line block ×3, first 2 shown]
	global_store_dwordx4 v[42:43], v[12:15], off
	global_store_dwordx4 v[32:33], v[16:19], off
	;; [unrolled: 1-line block ×5, first 2 shown]
	s_and_b32 exec_lo, exec_lo, vcc_lo
	s_cbranch_execz .LBB0_31
; %bb.30:
	s_clause 0x1
	buffer_load_dword v2, off, s[24:27], 0 offset:8
	buffer_load_dword v3, off, s[24:27], 0 offset:12
	s_waitcnt vmcnt(0)
	global_load_dwordx4 v[2:5], v[2:3], off offset:448
	ds_read_b128 v[6:9], v100 offset:8640
	ds_read_b128 v[10:13], v100 offset:17856
	s_waitcnt vmcnt(0) lgkmcnt(1)
	v_mul_f64 v[14:15], v[8:9], v[4:5]
	v_mul_f64 v[4:5], v[6:7], v[4:5]
	v_fma_f64 v[6:7], v[6:7], v[2:3], v[14:15]
	s_clause 0x1
	buffer_load_dword v14, off, s[24:27], 0
	buffer_load_dword v15, off, s[24:27], 0 offset:4
	v_fma_f64 v[4:5], v[2:3], v[8:9], -v[4:5]
	v_mul_f64 v[2:3], v[6:7], s[2:3]
	v_add_co_u32 v6, vcc_lo, v0, s6
	v_mul_f64 v[4:5], v[4:5], s[2:3]
	v_add_co_ci_u32_e32 v7, vcc_lo, s7, v1, vcc_lo
	global_store_dwordx4 v[6:7], v[2:5], off
	s_waitcnt vmcnt(1)
	v_add_co_u32 v0, vcc_lo, 0x4000, v14
	s_waitcnt vmcnt(0)
	v_add_co_ci_u32_e32 v1, vcc_lo, 0, v15, vcc_lo
	v_add_co_u32 v8, vcc_lo, v6, s4
	v_add_co_ci_u32_e32 v9, vcc_lo, s5, v7, vcc_lo
	global_load_dwordx4 v[0:3], v[0:1], off offset:1472
	s_waitcnt vmcnt(0) lgkmcnt(0)
	v_mul_f64 v[4:5], v[12:13], v[2:3]
	v_mul_f64 v[2:3], v[10:11], v[2:3]
	v_fma_f64 v[4:5], v[10:11], v[0:1], v[4:5]
	v_fma_f64 v[2:3], v[0:1], v[12:13], -v[2:3]
	v_mul_f64 v[0:1], v[4:5], s[2:3]
	v_mul_f64 v[2:3], v[2:3], s[2:3]
	v_add_co_u32 v4, vcc_lo, 0x6800, v14
	v_add_co_ci_u32_e32 v5, vcc_lo, 0, v15, vcc_lo
	global_store_dwordx4 v[8:9], v[0:3], off
	global_load_dwordx4 v[0:3], v[4:5], off offset:448
	ds_read_b128 v[4:7], v100 offset:27072
	s_waitcnt vmcnt(0) lgkmcnt(0)
	v_mul_f64 v[10:11], v[6:7], v[2:3]
	v_mul_f64 v[2:3], v[4:5], v[2:3]
	v_fma_f64 v[4:5], v[4:5], v[0:1], v[10:11]
	v_fma_f64 v[2:3], v[0:1], v[6:7], -v[2:3]
	v_mul_f64 v[0:1], v[4:5], s[2:3]
	v_mul_f64 v[2:3], v[2:3], s[2:3]
	v_add_co_u32 v4, vcc_lo, v8, s4
	v_add_co_ci_u32_e32 v5, vcc_lo, s5, v9, vcc_lo
	global_store_dwordx4 v[4:5], v[0:3], off
.LBB0_31:
	s_endpgm
	.section	.rodata,"a",@progbits
	.p2align	6, 0x0
	.amdhsa_kernel bluestein_single_back_len1728_dim1_dp_op_CI_CI
		.amdhsa_group_segment_fixed_size 27648
		.amdhsa_private_segment_fixed_size 464
		.amdhsa_kernarg_size 104
		.amdhsa_user_sgpr_count 6
		.amdhsa_user_sgpr_private_segment_buffer 1
		.amdhsa_user_sgpr_dispatch_ptr 0
		.amdhsa_user_sgpr_queue_ptr 0
		.amdhsa_user_sgpr_kernarg_segment_ptr 1
		.amdhsa_user_sgpr_dispatch_id 0
		.amdhsa_user_sgpr_flat_scratch_init 0
		.amdhsa_user_sgpr_private_segment_size 0
		.amdhsa_wavefront_size32 1
		.amdhsa_uses_dynamic_stack 0
		.amdhsa_system_sgpr_private_segment_wavefront_offset 1
		.amdhsa_system_sgpr_workgroup_id_x 1
		.amdhsa_system_sgpr_workgroup_id_y 0
		.amdhsa_system_sgpr_workgroup_id_z 0
		.amdhsa_system_sgpr_workgroup_info 0
		.amdhsa_system_vgpr_workitem_id 0
		.amdhsa_next_free_vgpr 256
		.amdhsa_next_free_sgpr 28
		.amdhsa_reserve_vcc 1
		.amdhsa_reserve_flat_scratch 0
		.amdhsa_float_round_mode_32 0
		.amdhsa_float_round_mode_16_64 0
		.amdhsa_float_denorm_mode_32 3
		.amdhsa_float_denorm_mode_16_64 3
		.amdhsa_dx10_clamp 1
		.amdhsa_ieee_mode 1
		.amdhsa_fp16_overflow 0
		.amdhsa_workgroup_processor_mode 1
		.amdhsa_memory_ordered 1
		.amdhsa_forward_progress 0
		.amdhsa_shared_vgpr_count 0
		.amdhsa_exception_fp_ieee_invalid_op 0
		.amdhsa_exception_fp_denorm_src 0
		.amdhsa_exception_fp_ieee_div_zero 0
		.amdhsa_exception_fp_ieee_overflow 0
		.amdhsa_exception_fp_ieee_underflow 0
		.amdhsa_exception_fp_ieee_inexact 0
		.amdhsa_exception_int_div_zero 0
	.end_amdhsa_kernel
	.text
.Lfunc_end0:
	.size	bluestein_single_back_len1728_dim1_dp_op_CI_CI, .Lfunc_end0-bluestein_single_back_len1728_dim1_dp_op_CI_CI
                                        ; -- End function
	.section	.AMDGPU.csdata,"",@progbits
; Kernel info:
; codeLenInByte = 22692
; NumSgprs: 30
; NumVgprs: 256
; ScratchSize: 464
; MemoryBound: 0
; FloatMode: 240
; IeeeMode: 1
; LDSByteSize: 27648 bytes/workgroup (compile time only)
; SGPRBlocks: 3
; VGPRBlocks: 31
; NumSGPRsForWavesPerEU: 30
; NumVGPRsForWavesPerEU: 256
; Occupancy: 4
; WaveLimiterHint : 1
; COMPUTE_PGM_RSRC2:SCRATCH_EN: 1
; COMPUTE_PGM_RSRC2:USER_SGPR: 6
; COMPUTE_PGM_RSRC2:TRAP_HANDLER: 0
; COMPUTE_PGM_RSRC2:TGID_X_EN: 1
; COMPUTE_PGM_RSRC2:TGID_Y_EN: 0
; COMPUTE_PGM_RSRC2:TGID_Z_EN: 0
; COMPUTE_PGM_RSRC2:TIDIG_COMP_CNT: 0
	.text
	.p2alignl 6, 3214868480
	.fill 48, 4, 3214868480
	.type	__hip_cuid_fb06238e8ae62ef,@object ; @__hip_cuid_fb06238e8ae62ef
	.section	.bss,"aw",@nobits
	.globl	__hip_cuid_fb06238e8ae62ef
__hip_cuid_fb06238e8ae62ef:
	.byte	0                               ; 0x0
	.size	__hip_cuid_fb06238e8ae62ef, 1

	.ident	"AMD clang version 19.0.0git (https://github.com/RadeonOpenCompute/llvm-project roc-6.4.0 25133 c7fe45cf4b819c5991fe208aaa96edf142730f1d)"
	.section	".note.GNU-stack","",@progbits
	.addrsig
	.addrsig_sym __hip_cuid_fb06238e8ae62ef
	.amdgpu_metadata
---
amdhsa.kernels:
  - .args:
      - .actual_access:  read_only
        .address_space:  global
        .offset:         0
        .size:           8
        .value_kind:     global_buffer
      - .actual_access:  read_only
        .address_space:  global
        .offset:         8
        .size:           8
        .value_kind:     global_buffer
      - .actual_access:  read_only
        .address_space:  global
        .offset:         16
        .size:           8
        .value_kind:     global_buffer
      - .actual_access:  read_only
        .address_space:  global
        .offset:         24
        .size:           8
        .value_kind:     global_buffer
      - .actual_access:  read_only
        .address_space:  global
        .offset:         32
        .size:           8
        .value_kind:     global_buffer
      - .offset:         40
        .size:           8
        .value_kind:     by_value
      - .address_space:  global
        .offset:         48
        .size:           8
        .value_kind:     global_buffer
      - .address_space:  global
        .offset:         56
        .size:           8
        .value_kind:     global_buffer
      - .address_space:  global
        .offset:         64
        .size:           8
        .value_kind:     global_buffer
      - .address_space:  global
        .offset:         72
        .size:           8
        .value_kind:     global_buffer
      - .offset:         80
        .size:           4
        .value_kind:     by_value
      - .address_space:  global
        .offset:         88
        .size:           8
        .value_kind:     global_buffer
      - .address_space:  global
        .offset:         96
        .size:           8
        .value_kind:     global_buffer
    .group_segment_fixed_size: 27648
    .kernarg_segment_align: 8
    .kernarg_segment_size: 104
    .language:       OpenCL C
    .language_version:
      - 2
      - 0
    .max_flat_workgroup_size: 108
    .name:           bluestein_single_back_len1728_dim1_dp_op_CI_CI
    .private_segment_fixed_size: 464
    .sgpr_count:     30
    .sgpr_spill_count: 0
    .symbol:         bluestein_single_back_len1728_dim1_dp_op_CI_CI.kd
    .uniform_work_group_size: 1
    .uses_dynamic_stack: false
    .vgpr_count:     256
    .vgpr_spill_count: 115
    .wavefront_size: 32
    .workgroup_processor_mode: 1
amdhsa.target:   amdgcn-amd-amdhsa--gfx1030
amdhsa.version:
  - 1
  - 2
...

	.end_amdgpu_metadata
